;; amdgpu-corpus repo=ROCm/rocFFT kind=compiled arch=gfx950 opt=O3
	.text
	.amdgcn_target "amdgcn-amd-amdhsa--gfx950"
	.amdhsa_code_object_version 6
	.protected	fft_rtc_fwd_len1690_factors_13_10_13_wgs_169_tpt_169_sp_op_CI_CI_unitstride_sbrr_dirReg ; -- Begin function fft_rtc_fwd_len1690_factors_13_10_13_wgs_169_tpt_169_sp_op_CI_CI_unitstride_sbrr_dirReg
	.globl	fft_rtc_fwd_len1690_factors_13_10_13_wgs_169_tpt_169_sp_op_CI_CI_unitstride_sbrr_dirReg
	.p2align	8
	.type	fft_rtc_fwd_len1690_factors_13_10_13_wgs_169_tpt_169_sp_op_CI_CI_unitstride_sbrr_dirReg,@function
fft_rtc_fwd_len1690_factors_13_10_13_wgs_169_tpt_169_sp_op_CI_CI_unitstride_sbrr_dirReg: ; @fft_rtc_fwd_len1690_factors_13_10_13_wgs_169_tpt_169_sp_op_CI_CI_unitstride_sbrr_dirReg
; %bb.0:
	s_load_dwordx4 s[4:7], s[0:1], 0x58
	s_load_dwordx4 s[8:11], s[0:1], 0x0
	;; [unrolled: 1-line block ×3, first 2 shown]
	v_mul_u32_u24_e32 v1, 0x184, v0
	v_add_u32_sdwa v6, s2, v1 dst_sel:DWORD dst_unused:UNUSED_PAD src0_sel:DWORD src1_sel:WORD_1
	v_mov_b32_e32 v4, 0
	s_waitcnt lgkmcnt(0)
	v_cmp_lt_u64_e64 s[2:3], s[10:11], 2
	v_mov_b32_e32 v7, v4
	s_and_b64 vcc, exec, s[2:3]
	v_mov_b64_e32 v[2:3], 0
	s_cbranch_vccnz .LBB0_8
; %bb.1:
	s_load_dwordx2 s[2:3], s[0:1], 0x10
	s_add_u32 s16, s14, 8
	s_addc_u32 s17, s15, 0
	s_add_u32 s18, s12, 8
	s_addc_u32 s19, s13, 0
	s_waitcnt lgkmcnt(0)
	s_add_u32 s20, s2, 8
	v_mov_b64_e32 v[2:3], 0
	s_addc_u32 s21, s3, 0
	s_mov_b64 s[22:23], 1
	v_mov_b64_e32 v[24:25], v[2:3]
.LBB0_2:                                ; =>This Inner Loop Header: Depth=1
	s_load_dwordx2 s[24:25], s[20:21], 0x0
                                        ; implicit-def: $vgpr26_vgpr27
	s_waitcnt lgkmcnt(0)
	v_or_b32_e32 v5, s25, v7
	v_cmp_ne_u64_e32 vcc, 0, v[4:5]
	s_and_saveexec_b64 s[2:3], vcc
	s_xor_b64 s[26:27], exec, s[2:3]
	s_cbranch_execz .LBB0_4
; %bb.3:                                ;   in Loop: Header=BB0_2 Depth=1
	v_cvt_f32_u32_e32 v1, s24
	v_cvt_f32_u32_e32 v5, s25
	s_sub_u32 s2, 0, s24
	s_subb_u32 s3, 0, s25
	v_fmac_f32_e32 v1, 0x4f800000, v5
	v_rcp_f32_e32 v1, v1
	s_nop 0
	v_mul_f32_e32 v1, 0x5f7ffffc, v1
	v_mul_f32_e32 v5, 0x2f800000, v1
	v_trunc_f32_e32 v5, v5
	v_fmac_f32_e32 v1, 0xcf800000, v5
	v_cvt_u32_f32_e32 v5, v5
	v_cvt_u32_f32_e32 v1, v1
	v_mul_lo_u32 v8, s2, v5
	v_mul_hi_u32 v10, s2, v1
	v_mul_lo_u32 v9, s3, v1
	v_add_u32_e32 v10, v10, v8
	v_mul_lo_u32 v12, s2, v1
	v_add_u32_e32 v13, v10, v9
	v_mul_hi_u32 v8, v1, v12
	v_mul_hi_u32 v11, v1, v13
	v_mul_lo_u32 v10, v1, v13
	v_mov_b32_e32 v9, v4
	v_lshl_add_u64 v[8:9], v[8:9], 0, v[10:11]
	v_mul_hi_u32 v11, v5, v12
	v_mul_lo_u32 v12, v5, v12
	v_add_co_u32_e32 v8, vcc, v8, v12
	v_mul_hi_u32 v10, v5, v13
	s_nop 0
	v_addc_co_u32_e32 v8, vcc, v9, v11, vcc
	v_mov_b32_e32 v9, v4
	s_nop 0
	v_addc_co_u32_e32 v11, vcc, 0, v10, vcc
	v_mul_lo_u32 v10, v5, v13
	v_lshl_add_u64 v[8:9], v[8:9], 0, v[10:11]
	v_add_co_u32_e32 v1, vcc, v1, v8
	v_mul_lo_u32 v10, s2, v1
	s_nop 0
	v_addc_co_u32_e32 v5, vcc, v5, v9, vcc
	v_mul_lo_u32 v8, s2, v5
	v_mul_hi_u32 v9, s2, v1
	v_add_u32_e32 v8, v9, v8
	v_mul_lo_u32 v9, s3, v1
	v_add_u32_e32 v12, v8, v9
	v_mul_hi_u32 v14, v5, v10
	v_mul_lo_u32 v15, v5, v10
	v_mul_hi_u32 v9, v1, v12
	v_mul_lo_u32 v8, v1, v12
	v_mul_hi_u32 v10, v1, v10
	v_mov_b32_e32 v11, v4
	v_lshl_add_u64 v[8:9], v[10:11], 0, v[8:9]
	v_add_co_u32_e32 v8, vcc, v8, v15
	v_mul_hi_u32 v13, v5, v12
	s_nop 0
	v_addc_co_u32_e32 v8, vcc, v9, v14, vcc
	v_mul_lo_u32 v10, v5, v12
	s_nop 0
	v_addc_co_u32_e32 v11, vcc, 0, v13, vcc
	v_mov_b32_e32 v9, v4
	v_lshl_add_u64 v[8:9], v[8:9], 0, v[10:11]
	v_add_co_u32_e32 v1, vcc, v1, v8
	v_mul_hi_u32 v10, v6, v1
	s_nop 0
	v_addc_co_u32_e32 v5, vcc, v5, v9, vcc
	v_mad_u64_u32 v[8:9], s[2:3], v6, v5, 0
	v_mov_b32_e32 v11, v4
	v_lshl_add_u64 v[8:9], v[10:11], 0, v[8:9]
	v_mad_u64_u32 v[12:13], s[2:3], v7, v1, 0
	v_add_co_u32_e32 v1, vcc, v8, v12
	v_mad_u64_u32 v[10:11], s[2:3], v7, v5, 0
	s_nop 0
	v_addc_co_u32_e32 v8, vcc, v9, v13, vcc
	v_mov_b32_e32 v9, v4
	s_nop 0
	v_addc_co_u32_e32 v11, vcc, 0, v11, vcc
	v_lshl_add_u64 v[8:9], v[8:9], 0, v[10:11]
	v_mul_lo_u32 v1, s25, v8
	v_mul_lo_u32 v5, s24, v9
	v_mad_u64_u32 v[10:11], s[2:3], s24, v8, 0
	v_add3_u32 v1, v11, v5, v1
	v_sub_u32_e32 v5, v7, v1
	v_mov_b32_e32 v11, s25
	v_sub_co_u32_e32 v14, vcc, v6, v10
	v_lshl_add_u64 v[12:13], v[8:9], 0, 1
	s_nop 0
	v_subb_co_u32_e64 v5, s[2:3], v5, v11, vcc
	v_subrev_co_u32_e64 v10, s[2:3], s24, v14
	v_subb_co_u32_e32 v1, vcc, v7, v1, vcc
	s_nop 0
	v_subbrev_co_u32_e64 v5, s[2:3], 0, v5, s[2:3]
	v_cmp_le_u32_e64 s[2:3], s25, v5
	v_cmp_le_u32_e32 vcc, s25, v1
	s_nop 0
	v_cndmask_b32_e64 v11, 0, -1, s[2:3]
	v_cmp_le_u32_e64 s[2:3], s24, v10
	s_nop 1
	v_cndmask_b32_e64 v10, 0, -1, s[2:3]
	v_cmp_eq_u32_e64 s[2:3], s25, v5
	s_nop 1
	v_cndmask_b32_e64 v5, v11, v10, s[2:3]
	v_lshl_add_u64 v[10:11], v[8:9], 0, 2
	v_cmp_ne_u32_e64 s[2:3], 0, v5
	s_nop 1
	v_cndmask_b32_e64 v5, v13, v11, s[2:3]
	v_cndmask_b32_e64 v11, 0, -1, vcc
	v_cmp_le_u32_e32 vcc, s24, v14
	s_nop 1
	v_cndmask_b32_e64 v13, 0, -1, vcc
	v_cmp_eq_u32_e32 vcc, s25, v1
	s_nop 1
	v_cndmask_b32_e32 v1, v11, v13, vcc
	v_cmp_ne_u32_e32 vcc, 0, v1
	v_cndmask_b32_e64 v1, v12, v10, s[2:3]
	s_nop 0
	v_cndmask_b32_e32 v27, v9, v5, vcc
	v_cndmask_b32_e32 v26, v8, v1, vcc
.LBB0_4:                                ;   in Loop: Header=BB0_2 Depth=1
	s_andn2_saveexec_b64 s[2:3], s[26:27]
	s_cbranch_execz .LBB0_6
; %bb.5:                                ;   in Loop: Header=BB0_2 Depth=1
	v_cvt_f32_u32_e32 v1, s24
	s_sub_i32 s26, 0, s24
	v_mov_b32_e32 v27, v4
	v_rcp_iflag_f32_e32 v1, v1
	s_nop 0
	v_mul_f32_e32 v1, 0x4f7ffffe, v1
	v_cvt_u32_f32_e32 v1, v1
	v_mul_lo_u32 v5, s26, v1
	v_mul_hi_u32 v5, v1, v5
	v_add_u32_e32 v1, v1, v5
	v_mul_hi_u32 v1, v6, v1
	v_mul_lo_u32 v5, v1, s24
	v_sub_u32_e32 v5, v6, v5
	v_add_u32_e32 v8, 1, v1
	v_subrev_u32_e32 v9, s24, v5
	v_cmp_le_u32_e32 vcc, s24, v5
	s_nop 1
	v_cndmask_b32_e32 v5, v5, v9, vcc
	v_cndmask_b32_e32 v1, v1, v8, vcc
	v_add_u32_e32 v8, 1, v1
	v_cmp_le_u32_e32 vcc, s24, v5
	s_nop 1
	v_cndmask_b32_e32 v26, v1, v8, vcc
.LBB0_6:                                ;   in Loop: Header=BB0_2 Depth=1
	s_or_b64 exec, exec, s[2:3]
	v_mad_u64_u32 v[8:9], s[2:3], v26, s24, 0
	s_load_dwordx2 s[2:3], s[18:19], 0x0
	v_mul_lo_u32 v1, v27, s24
	v_mul_lo_u32 v5, v26, s25
	s_load_dwordx2 s[24:25], s[16:17], 0x0
	s_add_u32 s22, s22, 1
	v_add3_u32 v1, v9, v5, v1
	v_sub_co_u32_e32 v5, vcc, v6, v8
	s_addc_u32 s23, s23, 0
	s_nop 0
	v_subb_co_u32_e32 v1, vcc, v7, v1, vcc
	s_add_u32 s16, s16, 8
	s_waitcnt lgkmcnt(0)
	v_mul_lo_u32 v6, s2, v1
	v_mul_lo_u32 v7, s3, v5
	v_mad_u64_u32 v[2:3], s[2:3], s2, v5, v[2:3]
	s_addc_u32 s17, s17, 0
	v_add3_u32 v3, v7, v3, v6
	v_mul_lo_u32 v1, s24, v1
	v_mul_lo_u32 v6, s25, v5
	v_mad_u64_u32 v[24:25], s[2:3], s24, v5, v[24:25]
	s_add_u32 s18, s18, 8
	v_add3_u32 v25, v6, v25, v1
	s_addc_u32 s19, s19, 0
	v_mov_b64_e32 v[6:7], s[10:11]
	s_add_u32 s20, s20, 8
	v_cmp_ge_u64_e32 vcc, s[22:23], v[6:7]
	s_addc_u32 s21, s21, 0
	s_cbranch_vccnz .LBB0_9
; %bb.7:                                ;   in Loop: Header=BB0_2 Depth=1
	v_mov_b64_e32 v[6:7], v[26:27]
	s_branch .LBB0_2
.LBB0_8:
	v_mov_b64_e32 v[24:25], v[2:3]
	v_mov_b64_e32 v[26:27], v[6:7]
.LBB0_9:
	s_load_dwordx2 s[0:1], s[0:1], 0x28
	s_mov_b32 s2, 0x183c978
	v_mul_hi_u32 v1, v0, s2
	v_mul_u32_u24_e32 v1, 0xa9, v1
	s_lshl_b64 s[16:17], s[10:11], 3
	v_sub_u32_e32 v28, v0, v1
	s_movk_i32 s2, 0x82
	s_add_u32 s10, s14, s16
	s_waitcnt lgkmcnt(0)
	v_cmp_gt_u64_e64 s[0:1], s[0:1], v[26:27]
	v_cmp_gt_u32_e32 vcc, s2, v28
	v_mov_b32_e32 v4, 0
	s_addc_u32 s11, s15, s17
	s_and_b64 s[2:3], s[0:1], vcc
	v_mov_b32_e32 v5, v4
                                        ; implicit-def: $vgpr40
                                        ; implicit-def: $vgpr38
                                        ; implicit-def: $vgpr42
                                        ; implicit-def: $vgpr46
                                        ; implicit-def: $vgpr48
                                        ; implicit-def: $vgpr44
                                        ; implicit-def: $vgpr50
                                        ; implicit-def: $vgpr52
                                        ; implicit-def: $vgpr54
                                        ; implicit-def: $vgpr58
                                        ; implicit-def: $vgpr56
                                        ; implicit-def: $vgpr60
	s_and_saveexec_b64 s[14:15], s[2:3]
	s_cbranch_execz .LBB0_11
; %bb.10:
	s_add_u32 s0, s12, s16
	s_addc_u32 s1, s13, s17
	s_load_dwordx2 s[0:1], s[0:1], 0x0
	v_mov_b32_e32 v29, 0
	s_waitcnt lgkmcnt(0)
	v_mul_lo_u32 v4, s1, v26
	v_mul_lo_u32 v5, s0, v27
	v_mad_u64_u32 v[0:1], s[0:1], s0, v26, 0
	v_add3_u32 v1, v1, v5, v4
	v_lshl_add_u64 v[0:1], v[0:1], 3, s[4:5]
	v_lshl_add_u64 v[0:1], v[2:3], 3, v[0:1]
	;; [unrolled: 1-line block ×3, first 2 shown]
	s_movk_i32 s0, 0x1000
	v_add_co_u32_e64 v2, s[0:1], s0, v0
	global_load_dwordx2 v[4:5], v[0:1], off
	global_load_dwordx2 v[60:61], v[0:1], off offset:1040
	global_load_dwordx2 v[56:57], v[0:1], off offset:2080
	;; [unrolled: 1-line block ×3, first 2 shown]
	v_addc_co_u32_e64 v3, s[0:1], 0, v1, s[0:1]
	s_movk_i32 s0, 0x2000
	global_load_dwordx2 v[50:51], v[2:3], off offset:64
	global_load_dwordx2 v[52:53], v[2:3], off offset:1104
	;; [unrolled: 1-line block ×4, first 2 shown]
	v_add_co_u32_e64 v2, s[0:1], s0, v0
	s_nop 1
	v_addc_co_u32_e64 v3, s[0:1], 0, v1, s[0:1]
	s_movk_i32 s0, 0x3000
	global_load_dwordx2 v[48:49], v[2:3], off offset:128
	global_load_dwordx2 v[46:47], v[2:3], off offset:1168
	;; [unrolled: 1-line block ×4, first 2 shown]
	v_add_co_u32_e64 v0, s[0:1], s0, v0
	s_nop 1
	v_addc_co_u32_e64 v1, s[0:1], 0, v1, s[0:1]
	global_load_dwordx2 v[40:41], v[0:1], off offset:192
.LBB0_11:
	s_or_b64 exec, exec, s[14:15]
	s_waitcnt vmcnt(0)
	v_pk_add_f32 v[0:1], v[60:61], v[40:41] neg_lo:[0,1] neg_hi:[0,1]
	v_pk_add_f32 v[18:19], v[60:61], v[40:41]
	v_pk_add_f32 v[6:7], v[60:61], v[40:41]
	v_mov_b32_e32 v19, v0
	v_mov_b32_e32 v6, v1
	v_pk_add_f32 v[0:1], v[56:57], v[38:39] neg_lo:[0,1] neg_hi:[0,1]
	v_pk_add_f32 v[20:21], v[56:57], v[38:39]
	v_pk_add_f32 v[8:9], v[56:57], v[38:39]
	v_mov_b32_e32 v21, v0
	v_mov_b32_e32 v8, v1
	v_pk_add_f32 v[0:1], v[44:45], v[42:43] neg_lo:[0,1] neg_hi:[0,1]
	v_pk_add_f32 v[22:23], v[44:45], v[42:43]
	v_pk_add_f32 v[10:11], v[44:45], v[42:43]
	s_mov_b32 s0, 0xbf52af12
	v_mov_b32_e32 v23, v0
	v_mov_b32_e32 v10, v1
	v_pk_add_f32 v[0:1], v[50:51], v[46:47] neg_lo:[0,1] neg_hi:[0,1]
	v_pk_add_f32 v[32:33], v[50:51], v[46:47]
	v_pk_add_f32 v[12:13], v[50:51], v[46:47]
	s_mov_b32 s1, 0x3f116cb1
	s_mov_b32 s4, 0xbf6f5d39
	v_mov_b32_e32 v33, v0
	v_mov_b32_e32 v12, v1
	v_pk_add_f32 v[0:1], v[52:53], v[48:49] neg_lo:[0,1] neg_hi:[0,1]
	v_pk_add_f32 v[34:35], v[52:53], v[48:49]
	v_pk_add_f32 v[14:15], v[52:53], v[48:49]
	s_mov_b32 s22, s1
	s_mov_b32 s23, s0
	;; [unrolled: 1-line block ×3, first 2 shown]
	v_mov_b32_e32 v35, v0
	v_mov_b32_e32 v14, v1
	v_pk_add_f32 v[0:1], v[54:55], v[58:59] neg_lo:[0,1] neg_hi:[0,1]
	v_pk_add_f32 v[36:37], v[54:55], v[58:59]
	v_pk_add_f32 v[16:17], v[54:55], v[58:59]
	s_mov_b32 s16, s5
	s_mov_b32 s17, s4
	v_pk_mul_f32 v[62:63], v[18:19], s[22:23]
	s_mov_b32 s24, 0xbe750f2a
	v_mov_b32_e32 v37, v0
	v_mov_b32_e32 v16, v1
	v_pk_fma_f32 v[0:1], v[6:7], s[0:1], v[62:63] neg_lo:[0,0,1] neg_hi:[0,0,1]
	v_pk_fma_f32 v[64:65], v[6:7], s[0:1], v[62:63]
	v_pk_mul_f32 v[66:67], v[20:21], s[16:17]
	s_mov_b32 s25, 0xbf788fa5
	v_mov_b32_e32 v0, v64
	v_pk_fma_f32 v[2:3], v[8:9], s[4:5], v[66:67] neg_lo:[0,0,1] neg_hi:[0,0,1]
	v_pk_fma_f32 v[68:69], v[8:9], s[4:5], v[66:67]
	s_mov_b32 s34, s25
	s_mov_b32 s35, s24
	;; [unrolled: 1-line block ×3, first 2 shown]
	v_pk_add_f32 v[0:1], v[4:5], v[0:1]
	v_mov_b32_e32 v2, v68
	v_pk_mul_f32 v[70:71], v[22:23], s[34:35]
	s_mov_b32 s19, 0xbf3f9e67
	s_mov_b32 s12, 0x3f29c268
	v_pk_add_f32 v[0:1], v[0:1], v[2:3]
	v_pk_fma_f32 v[2:3], v[10:11], s[24:25], v[70:71] neg_lo:[0,0,1] neg_hi:[0,0,1]
	v_pk_fma_f32 v[72:73], v[10:11], s[24:25], v[70:71]
	s_mov_b32 s40, s19
	s_mov_b32 s41, s12
	;; [unrolled: 1-line block ×3, first 2 shown]
	v_mov_b32_e32 v2, v72
	s_mov_b32 s13, s19
	v_pk_mul_f32 v[74:75], v[32:33], s[40:41]
	s_mov_b32 s15, 0x3df6dbef
	s_mov_b32 s20, 0x3f7e222b
	v_pk_add_f32 v[0:1], v[0:1], v[2:3]
	v_pk_fma_f32 v[2:3], v[12:13], s[12:13], v[74:75] neg_lo:[0,0,1] neg_hi:[0,0,1]
	v_pk_fma_f32 v[76:77], v[12:13], s[12:13], v[74:75]
	s_mov_b32 s30, s15
	s_mov_b32 s31, s20
	v_mov_b32_e32 v2, v76
	s_mov_b32 s21, s15
	v_pk_mul_f32 v[78:79], v[34:35], s[30:31]
	v_pk_add_f32 v[0:1], v[0:1], v[2:3]
	v_pk_fma_f32 v[2:3], v[14:15], s[20:21], v[78:79] neg_lo:[0,0,1] neg_hi:[0,0,1]
	v_pk_fma_f32 v[80:81], v[14:15], s[20:21], v[78:79]
	s_mov_b32 s42, s15
	s_mov_b32 s43, s14
	v_mov_b32_e32 v2, v80
	v_pk_mul_f32 v[82:83], v[18:19], s[42:43]
	v_pk_add_f32 v[0:1], v[0:1], v[2:3]
	v_pk_fma_f32 v[2:3], v[6:7], s[14:15], v[82:83] neg_lo:[0,0,1] neg_hi:[0,0,1]
	v_pk_fma_f32 v[84:85], v[6:7], s[14:15], v[82:83]
	v_pk_mul_f32 v[86:87], v[20:21], s[34:35]
	s_mov_b32 s44, 0x3f6f5d39
	v_mov_b32_e32 v2, v84
	v_pk_fma_f32 v[30:31], v[8:9], s[24:25], v[86:87] neg_lo:[0,0,1] neg_hi:[0,0,1]
	v_pk_fma_f32 v[88:89], v[8:9], s[24:25], v[86:87]
	s_mov_b32 s26, s5
	s_mov_b32 s27, s44
	;; [unrolled: 1-line block ×3, first 2 shown]
	v_pk_add_f32 v[2:3], v[4:5], v[2:3]
	v_mov_b32_e32 v30, v88
	s_mov_b32 s45, s5
	v_pk_mul_f32 v[90:91], v[22:23], s[26:27]
	s_mov_b32 s47, 0x3f62ad3f
	s_mov_b32 s26, 0x3eedf032
	v_pk_add_f32 v[2:3], v[2:3], v[30:31]
	v_pk_fma_f32 v[30:31], v[10:11], s[44:45], v[90:91] neg_lo:[0,0,1] neg_hi:[0,0,1]
	v_pk_fma_f32 v[92:93], v[10:11], s[44:45], v[90:91]
	s_mov_b32 s36, s47
	s_mov_b32 s37, s26
	v_mov_b32_e32 v30, v92
	s_mov_b32 s27, s47
	v_pk_mul_f32 v[94:95], v[32:33], s[36:37]
	v_pk_add_f32 v[2:3], v[2:3], v[30:31]
	v_pk_fma_f32 v[30:31], v[12:13], s[26:27], v[94:95] neg_lo:[0,0,1] neg_hi:[0,0,1]
	v_pk_fma_f32 v[96:97], v[12:13], s[26:27], v[94:95]
	v_pk_mul_f32 v[98:99], v[34:35], s[22:23]
	v_mov_b32_e32 v30, v96
	v_pk_add_f32 v[2:3], v[2:3], v[30:31]
	v_pk_fma_f32 v[30:31], v[14:15], s[0:1], v[98:99] neg_lo:[0,0,1] neg_hi:[0,0,1]
	v_pk_fma_f32 v[100:101], v[14:15], s[0:1], v[98:99]
	v_pk_mul_f32 v[106:107], v[36:37], s[36:37]
	v_mov_b32_e32 v30, v100
	v_pk_add_f32 v[30:31], v[2:3], v[30:31]
	s_mov_b32 s38, s19
	s_mov_b32 s39, s18
	v_pk_fma_f32 v[2:3], v[16:17], s[26:27], v[106:107] neg_lo:[0,0,1] neg_hi:[0,0,1]
	v_pk_fma_f32 v[108:109], v[16:17], s[26:27], v[106:107]
	v_pk_mul_f32 v[102:103], v[36:37], s[38:39]
	v_mov_b32_e32 v2, v108
	v_pk_add_f32 v[2:3], v[0:1], v[2:3]
	v_pk_fma_f32 v[0:1], v[16:17], s[18:19], v[102:103] neg_lo:[0,0,1] neg_hi:[0,0,1]
	v_pk_fma_f32 v[104:105], v[16:17], s[18:19], v[102:103]
	s_mov_b32 s28, s47
	s_mov_b32 s29, s46
	v_mov_b32_e32 v0, v104
	v_pk_mul_f32 v[132:133], v[18:19], s[28:29]
	v_pk_add_f32 v[0:1], v[30:31], v[0:1]
	v_pk_fma_f32 v[30:31], v[6:7], s[46:47], v[132:133] neg_lo:[0,0,1] neg_hi:[0,0,1]
	v_pk_fma_f32 v[128:129], v[6:7], s[46:47], v[132:133]
	v_pk_mul_f32 v[130:131], v[20:21], s[22:23]
	v_mov_b32_e32 v30, v128
	v_pk_fma_f32 v[110:111], v[8:9], s[0:1], v[130:131] neg_lo:[0,0,1] neg_hi:[0,0,1]
	v_pk_fma_f32 v[126:127], v[8:9], s[0:1], v[130:131]
	v_pk_add_f32 v[30:31], v[4:5], v[30:31]
	v_mov_b32_e32 v110, v126
	v_pk_mul_f32 v[124:125], v[22:23], s[42:43]
	v_pk_add_f32 v[30:31], v[30:31], v[110:111]
	v_pk_fma_f32 v[110:111], v[10:11], s[14:15], v[124:125] neg_lo:[0,0,1] neg_hi:[0,0,1]
	v_pk_fma_f32 v[122:123], v[10:11], s[14:15], v[124:125]
	v_pk_mul_f32 v[120:121], v[32:33], s[16:17]
	v_mov_b32_e32 v110, v122
	v_pk_add_f32 v[30:31], v[30:31], v[110:111]
	v_pk_fma_f32 v[110:111], v[12:13], s[4:5], v[120:121] neg_lo:[0,0,1] neg_hi:[0,0,1]
	v_pk_fma_f32 v[118:119], v[12:13], s[4:5], v[120:121]
	s_nop 0
	v_mov_b32_e32 v110, v118
	v_pk_add_f32 v[30:31], v[30:31], v[110:111]
	v_pk_mul_f32 v[110:111], v[34:35], s[38:39]
	s_nop 0
	v_pk_fma_f32 v[114:115], v[14:15], s[18:19], v[110:111] neg_lo:[0,0,1] neg_hi:[0,0,1]
	v_pk_fma_f32 v[112:113], v[14:15], s[18:19], v[110:111]
	s_nop 0
	v_mov_b32_e32 v114, v112
	v_pk_add_f32 v[30:31], v[30:31], v[114:115]
	v_pk_mul_f32 v[114:115], v[36:37], s[34:35]
	s_nop 0
	v_pk_fma_f32 v[134:135], v[16:17], s[24:25], v[114:115] neg_lo:[0,0,1] neg_hi:[0,0,1]
	v_pk_fma_f32 v[116:117], v[16:17], s[24:25], v[114:115]
	s_nop 0
	v_mov_b32_e32 v134, v116
	v_pk_add_f32 v[30:31], v[30:31], v[134:135]
	s_and_saveexec_b64 s[28:29], vcc
	s_cbranch_execz .LBB0_13
; %bb.12:
	v_pk_add_f32 v[60:61], v[4:5], v[60:61]
	s_movk_i32 s33, 0x68
	v_pk_add_f32 v[56:57], v[60:61], v[56:57]
	v_mad_u32_u24 v29, v28, s33, 0
	v_pk_add_f32 v[44:45], v[56:57], v[44:45]
	v_pk_mul_f32 v[56:57], v[10:11], s[24:25]
	v_pk_add_f32 v[44:45], v[44:45], v[50:51]
	v_pk_mul_f32 v[50:51], v[6:7], s[46:47]
	;; [unrolled: 2-line block ×3, first 2 shown]
	v_pk_add_f32 v[44:45], v[44:45], v[54:55]
	v_pk_add_f32 v[50:51], v[132:133], v[50:51] neg_lo:[0,1] neg_hi:[0,1]
	v_pk_add_f32 v[44:45], v[44:45], v[58:59]
	v_pk_mul_f32 v[54:55], v[10:11], s[14:15]
	v_mov_b32_e32 v51, v129
	v_pk_add_f32 v[52:53], v[130:131], v[52:53] neg_lo:[0,1] neg_hi:[0,1]
	v_pk_add_f32 v[44:45], v[48:49], v[44:45]
	v_pk_mul_f32 v[48:49], v[12:13], s[4:5]
	v_mov_b32_e32 v53, v127
	v_pk_add_f32 v[50:51], v[4:5], v[50:51]
	v_pk_add_f32 v[54:55], v[124:125], v[54:55] neg_lo:[0,1] neg_hi:[0,1]
	v_pk_add_f32 v[44:45], v[46:47], v[44:45]
	v_pk_mul_f32 v[46:47], v[14:15], s[18:19]
	v_pk_add_f32 v[50:51], v[50:51], v[52:53]
	v_mov_b32_e32 v55, v123
	v_pk_add_f32 v[48:49], v[120:121], v[48:49] neg_lo:[0,1] neg_hi:[0,1]
	v_pk_add_f32 v[42:43], v[42:43], v[44:45]
	v_pk_mul_f32 v[44:45], v[16:17], s[24:25]
	v_pk_add_f32 v[50:51], v[50:51], v[54:55]
	v_mov_b32_e32 v49, v119
	v_pk_add_f32 v[46:47], v[110:111], v[46:47] neg_lo:[0,1] neg_hi:[0,1]
	v_pk_add_f32 v[48:49], v[50:51], v[48:49]
	v_mov_b32_e32 v47, v113
	v_pk_add_f32 v[44:45], v[114:115], v[44:45] neg_lo:[0,1] neg_hi:[0,1]
	v_pk_add_f32 v[38:39], v[38:39], v[42:43]
	v_pk_add_f32 v[46:47], v[48:49], v[46:47]
	v_mov_b32_e32 v45, v117
	v_pk_mul_f32 v[42:43], v[6:7], s[0:1]
	v_pk_add_f32 v[38:39], v[40:41], v[38:39]
	v_pk_add_f32 v[44:45], v[46:47], v[44:45]
	v_pk_mul_f32 v[40:41], v[8:9], s[4:5]
	ds_write2_b64 v29, v[38:39], v[44:45] offset1:1
	v_pk_add_f32 v[38:39], v[62:63], v[42:43] neg_lo:[0,1] neg_hi:[0,1]
	v_pk_add_f32 v[40:41], v[66:67], v[40:41] neg_lo:[0,1] neg_hi:[0,1]
	v_mov_b32_e32 v39, v65
	v_pk_add_f32 v[38:39], v[4:5], v[38:39]
	v_mov_b32_e32 v41, v69
	v_pk_add_f32 v[38:39], v[38:39], v[40:41]
	v_pk_add_f32 v[40:41], v[70:71], v[56:57] neg_lo:[0,1] neg_hi:[0,1]
	v_pk_mul_f32 v[58:59], v[12:13], s[12:13]
	v_mov_b32_e32 v41, v73
	v_pk_add_f32 v[38:39], v[38:39], v[40:41]
	v_pk_add_f32 v[40:41], v[74:75], v[58:59] neg_lo:[0,1] neg_hi:[0,1]
	v_pk_mul_f32 v[60:61], v[14:15], s[20:21]
	;; [unrolled: 4-line block ×4, first 2 shown]
	v_mov_b32_e32 v41, v109
	v_pk_mul_f32 v[124:125], v[8:9], s[24:25]
	v_pk_add_f32 v[38:39], v[38:39], v[40:41]
	v_pk_add_f32 v[40:41], v[82:83], v[52:53] neg_lo:[0,1] neg_hi:[0,1]
	v_pk_add_f32 v[42:43], v[86:87], v[124:125] neg_lo:[0,1] neg_hi:[0,1]
	v_mov_b32_e32 v41, v85
	v_pk_mul_f32 v[122:123], v[10:11], s[44:45]
	v_pk_add_f32 v[40:41], v[4:5], v[40:41]
	v_mov_b32_e32 v43, v89
	v_pk_add_f32 v[40:41], v[40:41], v[42:43]
	v_pk_add_f32 v[42:43], v[90:91], v[122:123] neg_lo:[0,1] neg_hi:[0,1]
	v_pk_mul_f32 v[54:55], v[12:13], s[26:27]
	v_mov_b32_e32 v43, v93
	v_pk_add_f32 v[40:41], v[40:41], v[42:43]
	v_pk_add_f32 v[42:43], v[94:95], v[54:55] neg_lo:[0,1] neg_hi:[0,1]
	v_pk_mul_f32 v[120:121], v[14:15], s[0:1]
	;; [unrolled: 4-line block ×4, first 2 shown]
	v_mov_b32_e32 v43, v105
	v_pk_add_f32 v[40:41], v[40:41], v[42:43]
	ds_write2_b64 v29, v[38:39], v[40:41] offset0:2 offset1:3
	v_pk_mul_f32 v[38:39], v[18:19], s[16:17]
	v_pk_fma_f32 v[46:47], v[8:9], s[12:13], v[44:45] neg_lo:[1,0,0] neg_hi:[1,0,0]
	v_pk_fma_f32 v[40:41], v[6:7], s[4:5], v[38:39] neg_lo:[1,0,0] neg_hi:[1,0,0]
	v_pk_fma_f32 v[42:43], v[6:7], s[4:5], v[38:39]
	v_pk_fma_f32 v[48:49], v[8:9], s[12:13], v[44:45]
	v_mov_b32_e32 v41, v43
	v_pk_add_f32 v[40:41], v[4:5], v[40:41]
	v_mov_b32_e32 v47, v49
	v_pk_add_f32 v[40:41], v[40:41], v[46:47]
	v_pk_mul_f32 v[46:47], v[22:23], s[36:37]
	s_mov_b32 s45, 0x3e750f2a
	v_pk_fma_f32 v[50:51], v[10:11], s[26:27], v[46:47] neg_lo:[1,0,0] neg_hi:[1,0,0]
	v_pk_fma_f32 v[52:53], v[10:11], s[26:27], v[46:47]
	s_mov_b32 s44, s25
	v_mov_b32_e32 v51, v53
	v_pk_add_f32 v[40:41], v[40:41], v[50:51]
	v_pk_mul_f32 v[50:51], v[32:33], s[42:43]
	s_mov_b32 s40, s45
	v_pk_fma_f32 v[54:55], v[12:13], s[14:15], v[50:51] neg_lo:[1,0,0] neg_hi:[1,0,0]
	v_pk_fma_f32 v[56:57], v[12:13], s[14:15], v[50:51]
	s_mov_b32 s41, s25
	;; [unrolled: 7-line block ×3, first 2 shown]
	v_mov_b32_e32 v59, v61
	v_pk_add_f32 v[40:41], v[40:41], v[58:59]
	v_pk_mul_f32 v[58:59], v[36:37], s[46:47]
	s_mov_b32 s42, s47
	s_mov_b32 s43, s1
	v_pk_fma_f32 v[62:63], v[16:17], s[42:43], v[58:59] neg_lo:[1,0,0] neg_hi:[1,0,0]
	v_pk_fma_f32 v[64:65], v[16:17], s[42:43], v[58:59]
	v_pk_mul_f32 v[70:71], v[20:21], s[30:31]
	v_mov_b32_e32 v63, v65
	v_pk_add_f32 v[40:41], v[40:41], v[62:63]
	v_pk_mul_f32 v[62:63], v[18:19], s[38:39]
	v_pk_fma_f32 v[72:73], v[8:9], s[20:21], v[70:71] neg_lo:[1,0,0] neg_hi:[1,0,0]
	v_pk_fma_f32 v[66:67], v[6:7], s[18:19], v[62:63] neg_lo:[1,0,0] neg_hi:[1,0,0]
	v_pk_fma_f32 v[68:69], v[6:7], s[18:19], v[62:63]
	v_pk_fma_f32 v[74:75], v[8:9], s[20:21], v[70:71]
	v_mov_b32_e32 v67, v69
	v_pk_add_f32 v[66:67], v[4:5], v[66:67]
	v_mov_b32_e32 v73, v75
	v_pk_add_f32 v[66:67], v[66:67], v[72:73]
	v_pk_mul_f32 v[72:73], v[22:23], s[22:23]
	v_pk_mul_f32 v[18:19], v[18:19], s[34:35]
	v_pk_fma_f32 v[76:77], v[10:11], s[0:1], v[72:73] neg_lo:[1,0,0] neg_hi:[1,0,0]
	v_pk_fma_f32 v[78:79], v[10:11], s[0:1], v[72:73]
	v_pk_mul_f32 v[20:21], v[20:21], s[36:37]
	v_mov_b32_e32 v77, v79
	v_pk_add_f32 v[66:67], v[66:67], v[76:77]
	v_pk_mul_f32 v[76:77], v[32:33], s[44:45]
	v_pk_fma_f32 v[92:93], v[8:9], s[26:27], v[20:21]
	v_pk_fma_f32 v[80:81], v[12:13], s[40:41], v[76:77] neg_lo:[1,0,0] neg_hi:[1,0,0]
	v_pk_fma_f32 v[82:83], v[12:13], s[40:41], v[76:77]
	v_pk_mul_f32 v[22:23], v[22:23], s[38:39]
	v_mov_b32_e32 v81, v83
	v_pk_add_f32 v[66:67], v[66:67], v[80:81]
	v_pk_mul_f32 v[80:81], v[34:35], s[36:37]
	v_pk_fma_f32 v[94:95], v[10:11], s[18:19], v[22:23]
	;; [unrolled: 7-line block ×3, first 2 shown]
	v_pk_fma_f32 v[88:89], v[16:17], s[4:5], v[84:85] neg_lo:[1,0,0] neg_hi:[1,0,0]
	v_pk_fma_f32 v[90:91], v[16:17], s[4:5], v[84:85]
	v_pk_mul_f32 v[34:35], v[34:35], s[16:17]
	v_mov_b32_e32 v89, v91
	v_pk_add_f32 v[66:67], v[66:67], v[88:89]
	ds_write2_b64 v29, v[40:41], v[66:67] offset0:4 offset1:5
	v_pk_fma_f32 v[40:41], v[6:7], s[24:25], v[18:19] neg_lo:[1,0,0] neg_hi:[1,0,0]
	v_pk_fma_f32 v[66:67], v[6:7], s[24:25], v[18:19]
	v_pk_fma_f32 v[88:89], v[8:9], s[26:27], v[20:21] neg_lo:[1,0,0] neg_hi:[1,0,0]
	v_mov_b32_e32 v41, v67
	v_pk_add_f32 v[40:41], v[4:5], v[40:41]
	v_mov_b32_e32 v89, v93
	v_pk_add_f32 v[40:41], v[40:41], v[88:89]
	v_pk_fma_f32 v[88:89], v[10:11], s[18:19], v[22:23] neg_lo:[1,0,0] neg_hi:[1,0,0]
	v_pk_fma_f32 v[18:19], v[6:7], s[24:25], v[18:19] neg_lo:[0,0,1] neg_hi:[0,0,1]
	v_mov_b32_e32 v89, v95
	v_pk_add_f32 v[40:41], v[40:41], v[88:89]
	v_pk_fma_f32 v[88:89], v[12:13], s[42:43], v[32:33] neg_lo:[1,0,0] neg_hi:[1,0,0]
	v_mov_b32_e32 v67, v19
	v_pk_fma_f32 v[20:21], v[8:9], s[26:27], v[20:21] neg_lo:[0,0,1] neg_hi:[0,0,1]
	v_mov_b32_e32 v89, v97
	v_pk_add_f32 v[18:19], v[4:5], v[66:67]
	v_mov_b32_e32 v93, v21
	v_pk_fma_f32 v[20:21], v[10:11], s[18:19], v[22:23] neg_lo:[0,0,1] neg_hi:[0,0,1]
	v_pk_add_f32 v[40:41], v[40:41], v[88:89]
	v_pk_fma_f32 v[88:89], v[14:15], s[4:5], v[34:35] neg_lo:[1,0,0] neg_hi:[1,0,0]
	v_pk_fma_f32 v[98:99], v[14:15], s[4:5], v[34:35]
	v_pk_add_f32 v[18:19], v[18:19], v[92:93]
	v_mov_b32_e32 v95, v21
	v_pk_fma_f32 v[20:21], v[12:13], s[42:43], v[32:33] neg_lo:[0,0,1] neg_hi:[0,0,1]
	v_mov_b32_e32 v89, v99
	v_pk_mul_f32 v[36:37], v[36:37], s[30:31]
	v_pk_add_f32 v[18:19], v[18:19], v[94:95]
	v_mov_b32_e32 v97, v21
	v_pk_fma_f32 v[20:21], v[14:15], s[4:5], v[34:35] neg_lo:[0,0,1] neg_hi:[0,0,1]
	v_pk_add_f32 v[40:41], v[40:41], v[88:89]
	v_pk_fma_f32 v[88:89], v[16:17], s[20:21], v[36:37] neg_lo:[1,0,0] neg_hi:[1,0,0]
	v_pk_fma_f32 v[100:101], v[16:17], s[20:21], v[36:37]
	v_pk_add_f32 v[18:19], v[18:19], v[96:97]
	v_mov_b32_e32 v99, v21
	v_pk_fma_f32 v[20:21], v[16:17], s[20:21], v[36:37] neg_lo:[0,0,1] neg_hi:[0,0,1]
	v_mov_b32_e32 v89, v101
	v_pk_add_f32 v[18:19], v[18:19], v[98:99]
	v_mov_b32_e32 v101, v21
	v_pk_add_f32 v[40:41], v[40:41], v[88:89]
	v_pk_add_f32 v[18:19], v[18:19], v[100:101]
	ds_write2_b64 v29, v[40:41], v[18:19] offset0:6 offset1:7
	v_pk_fma_f32 v[18:19], v[6:7], s[18:19], v[62:63] neg_lo:[0,0,1] neg_hi:[0,0,1]
	v_pk_fma_f32 v[6:7], v[6:7], s[4:5], v[38:39] neg_lo:[0,0,1] neg_hi:[0,0,1]
	v_mov_b32_e32 v69, v19
	v_pk_fma_f32 v[20:21], v[8:9], s[20:21], v[70:71] neg_lo:[0,0,1] neg_hi:[0,0,1]
	v_mov_b32_e32 v43, v7
	v_pk_fma_f32 v[6:7], v[8:9], s[12:13], v[44:45] neg_lo:[0,0,1] neg_hi:[0,0,1]
	v_pk_add_f32 v[18:19], v[4:5], v[68:69]
	v_mov_b32_e32 v75, v21
	v_pk_fma_f32 v[20:21], v[10:11], s[0:1], v[72:73] neg_lo:[0,0,1] neg_hi:[0,0,1]
	v_pk_add_f32 v[4:5], v[4:5], v[42:43]
	;; [unrolled: 3-line block ×9, first 2 shown]
	v_mov_b32_e32 v91, v21
	v_pk_add_f32 v[4:5], v[4:5], v[60:61]
	v_mov_b32_e32 v65, v7
	v_pk_add_f32 v[18:19], v[18:19], v[90:91]
	v_pk_add_f32 v[4:5], v[4:5], v[64:65]
	ds_write2_b64 v29, v[18:19], v[4:5] offset0:8 offset1:9
	ds_write2_b64 v29, v[0:1], v[2:3] offset0:10 offset1:11
	ds_write_b64 v29, v[30:31] offset:96
.LBB0_13:
	s_or_b64 exec, exec, s[28:29]
	s_movk_i32 s4, 0x4f
	v_mul_lo_u16_sdwa v4, v28, s4 dst_sel:DWORD dst_unused:UNUSED_PAD src0_sel:BYTE_0 src1_sel:DWORD
	v_lshrrev_b16_e32 v67, 10, v4
	v_mul_lo_u16_e32 v4, 13, v67
	v_sub_u16_e32 v72, v28, v4
	v_mov_b32_e32 v4, 9
	v_mul_u32_u24_sdwa v4, v72, v4 dst_sel:DWORD dst_unused:UNUSED_PAD src0_sel:BYTE_0 src1_sel:DWORD
	v_lshlrev_b32_e32 v20, 3, v4
	s_load_dwordx2 s[0:1], s[10:11], 0x0
	s_waitcnt lgkmcnt(0)
	s_barrier
	global_load_dwordx4 v[4:7], v20, s[8:9] offset:48
	global_load_dwordx2 v[50:51], v20, s[8:9] offset:64
	global_load_dwordx4 v[8:11], v20, s[8:9]
	global_load_dwordx4 v[12:15], v20, s[8:9] offset:16
	global_load_dwordx4 v[16:19], v20, s[8:9] offset:32
	v_lshl_add_u32 v29, v28, 3, 0
	ds_read2_b64 v[20:23], v29 offset1:169
	v_add_u32_e32 v42, 0x1400, v29
	v_add_u32_e32 v32, 0x2800, v29
	;; [unrolled: 1-line block ×4, first 2 shown]
	ds_read2_b64 v[34:37], v32 offset0:72 offset1:241
	ds_read2_b64 v[38:41], v33 offset0:82 offset1:251
	ds_read2_b64 v[42:45], v42 offset0:36 offset1:205
	ds_read2_b64 v[46:49], v46 offset0:54 offset1:223
	s_mov_b32 s4, 0x3f737871
	s_mov_b32 s5, 0xbf737871
	;; [unrolled: 1-line block ×5, first 2 shown]
	s_waitcnt lgkmcnt(0)
	s_barrier
	s_waitcnt vmcnt(4)
	v_mov_b32_e32 v52, v7
	s_waitcnt vmcnt(3)
	v_pk_mul_f32 v[54:55], v[36:37], v[50:51] op_sel:[0,1]
	s_waitcnt vmcnt(2)
	v_pk_mul_f32 v[56:57], v[8:9], v[22:23] op_sel_hi:[1,0]
	v_pk_mul_f32 v[58:59], v[10:11], v[38:39] op_sel:[0,1]
	s_waitcnt vmcnt(1)
	v_pk_mul_f32 v[60:61], v[12:13], v[40:41] op_sel_hi:[1,0]
	;; [unrolled: 3-line block ×3, first 2 shown]
	v_mov_b32_e32 v66, v19
	v_pk_mul_f32 v[68:69], v[48:49], v[4:5] op_sel_hi:[1,0]
	v_pk_mul_f32 v[52:53], v[34:35], v[52:53] op_sel_hi:[1,0]
	v_pk_fma_f32 v[70:71], v[36:37], v[50:51], v[54:55] op_sel:[0,0,1] op_sel_hi:[1,1,0] neg_lo:[0,0,1] neg_hi:[0,0,1]
	v_pk_fma_f32 v[36:37], v[36:37], v[50:51], v[54:55] op_sel:[0,0,1] op_sel_hi:[1,0,0]
	v_pk_fma_f32 v[50:51], v[8:9], v[22:23], v[56:57] op_sel:[0,1,1] op_sel_hi:[1,1,0] neg_lo:[1,0,0] neg_hi:[1,0,0]
	v_pk_fma_f32 v[8:9], v[8:9], v[22:23], v[56:57] op_sel:[0,1,1] op_sel_hi:[1,1,0]
	v_pk_fma_f32 v[22:23], v[10:11], v[38:39], v[58:59] op_sel:[0,0,1] op_sel_hi:[1,0,0]
	v_pk_fma_f32 v[10:11], v[10:11], v[38:39], v[58:59] op_sel:[0,0,1] op_sel_hi:[1,0,0] neg_lo:[0,0,1] neg_hi:[0,0,1]
	v_pk_fma_f32 v[38:39], v[12:13], v[40:41], v[60:61] op_sel:[0,1,1] op_sel_hi:[1,1,0] neg_lo:[1,0,0] neg_hi:[1,0,0]
	v_pk_fma_f32 v[12:13], v[12:13], v[40:41], v[60:61] op_sel:[0,1,1] op_sel_hi:[1,1,0]
	v_pk_fma_f32 v[40:41], v[14:15], v[42:43], v[62:63] op_sel:[0,0,1] op_sel_hi:[1,0,0]
	v_pk_fma_f32 v[14:15], v[14:15], v[42:43], v[62:63] op_sel:[0,0,1] op_sel_hi:[1,0,0] neg_lo:[0,0,1] neg_hi:[0,0,1]
	v_pk_fma_f32 v[42:43], v[16:17], v[44:45], v[64:65] op_sel:[0,1,1] op_sel_hi:[1,1,0] neg_lo:[1,0,0] neg_hi:[1,0,0]
	v_pk_fma_f32 v[16:17], v[16:17], v[44:45], v[64:65] op_sel:[0,1,1] op_sel_hi:[1,1,0]
	v_pk_mul_f32 v[44:45], v[46:47], v[66:67] op_sel_hi:[1,0]
	v_pk_fma_f32 v[54:55], v[48:49], v[4:5], v[68:69] op_sel:[0,1,1] op_sel_hi:[1,1,0] neg_lo:[1,0,0] neg_hi:[1,0,0]
	v_pk_fma_f32 v[4:5], v[48:49], v[4:5], v[68:69] op_sel:[0,1,1] op_sel_hi:[1,1,0]
	v_pk_fma_f32 v[48:49], v[34:35], v[6:7], v[52:53] op_sel:[0,0,1] op_sel_hi:[1,1,0] neg_lo:[0,0,1] neg_hi:[0,0,1]
	v_pk_fma_f32 v[6:7], v[34:35], v[6:7], v[52:53] op_sel:[0,0,1] op_sel_hi:[1,0,0]
	v_mov_b32_e32 v11, v23
	v_mov_b32_e32 v15, v41
	v_pk_fma_f32 v[22:23], v[46:47], v[18:19], v[44:45] op_sel:[0,0,1] op_sel_hi:[1,0,0]
	v_pk_fma_f32 v[18:19], v[46:47], v[18:19], v[44:45] op_sel:[0,0,1] op_sel_hi:[1,0,0] neg_lo:[0,0,1] neg_hi:[0,0,1]
	v_mov_b32_e32 v49, v7
	v_pk_add_f32 v[6:7], v[20:21], v[10:11]
	v_mov_b32_e32 v19, v23
	v_pk_add_f32 v[56:57], v[10:11], v[48:49]
	v_pk_add_f32 v[6:7], v[6:7], v[14:15]
	v_mov_b32_e32 v34, v37
	v_mov_b32_e32 v35, v70
	;; [unrolled: 1-line block ×7, first 2 shown]
	v_pk_add_f32 v[22:23], v[14:15], v[10:11] neg_lo:[0,1] neg_hi:[0,1]
	v_pk_add_f32 v[52:53], v[14:15], v[18:19] neg_lo:[0,1] neg_hi:[0,1]
	;; [unrolled: 1-line block ×4, first 2 shown]
	v_pk_fma_f32 v[56:57], v[56:57], 0.5, v[20:21] op_sel_hi:[1,0,1] neg_lo:[1,0,0] neg_hi:[1,0,0]
	v_pk_add_f32 v[6:7], v[6:7], v[18:19]
	v_mov_b32_e32 v71, v37
	v_mov_b32_e32 v37, v12
	v_mov_b32_e32 v38, v51
	v_pk_add_f32 v[46:47], v[8:9], v[12:13]
	v_pk_add_f32 v[50:51], v[16:17], v[12:13] neg_lo:[0,1] neg_hi:[0,1]
	v_pk_mul_f32 v[60:61], v[54:55], s[10:11] op_sel_hi:[1,0]
	v_pk_add_f32 v[22:23], v[22:23], v[58:59]
	v_pk_add_f32 v[58:59], v[6:7], v[48:49]
	v_pk_fma_f32 v[6:7], v[52:53], s[4:5], v[56:57] op_sel:[1,0,0] op_sel_hi:[0,0,1] neg_lo:[1,0,0] neg_hi:[1,0,0]
	v_pk_fma_f32 v[56:57], v[52:53], s[4:5], v[56:57] op_sel:[1,0,0] op_sel_hi:[0,0,1]
	v_pk_add_f32 v[12:13], v[12:13], v[34:35]
	v_mov_b32_e32 v36, v39
	v_mov_b32_e32 v39, v8
	v_pk_add_f32 v[62:63], v[6:7], v[60:61] op_sel:[0,1] op_sel_hi:[1,0]
	v_pk_add_f32 v[56:57], v[56:57], v[60:61] op_sel:[0,1] op_sel_hi:[1,0] neg_lo:[0,1] neg_hi:[0,1]
	v_pk_fma_f32 v[8:9], v[12:13], 0.5, v[8:9] op_sel_hi:[1,0,1] neg_lo:[1,0,0] neg_hi:[1,0,0]
	v_pk_add_f32 v[12:13], v[4:5], v[34:35] neg_lo:[0,1] neg_hi:[0,1]
	v_mov_b32_e32 v40, v43
	v_mov_b32_e32 v41, v16
	;; [unrolled: 1-line block ×5, first 2 shown]
	v_pk_add_f32 v[12:13], v[50:51], v[12:13]
	v_pk_add_f32 v[50:51], v[14:15], v[18:19]
	v_pk_add_f32 v[44:45], v[40:41], v[42:43] neg_lo:[0,1] neg_hi:[0,1]
	v_pk_fma_f32 v[60:61], v[22:23], s[12:13], v[6:7] op_sel_hi:[1,0,1]
	v_pk_add_f32 v[6:7], v[36:37], v[70:71] neg_lo:[0,1] neg_hi:[0,1]
	v_pk_fma_f32 v[20:21], v[50:51], 0.5, v[20:21] op_sel_hi:[1,0,1] neg_lo:[1,0,0] neg_hi:[1,0,0]
	v_pk_add_f32 v[10:11], v[10:11], v[14:15] neg_lo:[0,1] neg_hi:[0,1]
	v_pk_add_f32 v[14:15], v[40:41], v[42:43]
	v_pk_add_f32 v[36:37], v[36:37], v[40:41] neg_lo:[0,1] neg_hi:[0,1]
	v_pk_mul_f32 v[40:41], v[54:55], s[4:5] op_sel_hi:[1,0]
	v_pk_add_f32 v[18:19], v[48:49], v[18:19] neg_lo:[0,1] neg_hi:[0,1]
	v_pk_add_f32 v[16:17], v[46:47], v[16:17]
	v_pk_add_f32 v[18:19], v[10:11], v[18:19]
	v_pk_add_f32 v[10:11], v[20:21], v[40:41] op_sel:[0,1] op_sel_hi:[1,0] neg_lo:[0,1] neg_hi:[0,1]
	v_pk_add_f32 v[20:21], v[20:21], v[40:41] op_sel:[0,1] op_sel_hi:[1,0]
	v_pk_add_f32 v[4:5], v[16:17], v[4:5]
	v_pk_fma_f32 v[40:41], v[52:53], s[10:11], v[10:11] op_sel:[1,0,0] op_sel_hi:[0,0,1] neg_lo:[1,0,0] neg_hi:[1,0,0]
	v_pk_fma_f32 v[20:21], v[52:53], s[10:11], v[20:21] op_sel:[1,0,0] op_sel_hi:[0,0,1]
	v_pk_add_f32 v[34:35], v[4:5], v[70:71] op_sel:[1,0] op_sel_hi:[0,1]
	v_pk_fma_f32 v[4:5], v[44:45], s[4:5], v[8:9] op_sel_hi:[1,0,1]
	v_pk_fma_f32 v[8:9], v[44:45], s[4:5], v[8:9] op_sel_hi:[1,0,1] neg_lo:[1,0,0] neg_hi:[1,0,0]
	v_mov_b32_e32 v10, v20
	v_mov_b32_e32 v11, v41
	v_pk_fma_f32 v[16:17], v[6:7], s[10:11], v[4:5] op_sel_hi:[1,0,1] neg_lo:[1,0,0] neg_hi:[1,0,0]
	v_pk_fma_f32 v[8:9], v[6:7], s[10:11], v[8:9] op_sel_hi:[1,0,1]
	v_pk_fma_f32 v[14:15], v[14:15], 0.5, v[38:39] op_sel_hi:[1,0,1] neg_lo:[1,0,0] neg_hi:[1,0,0]
	v_pk_mul_f32 v[38:39], v[44:45], s[10:11] op_sel_hi:[1,0]
	v_pk_fma_f32 v[44:45], v[18:19], s[12:13], v[10:11] op_sel_hi:[1,0,1]
	v_pk_mul_f32 v[6:7], v[6:7], s[4:5] op_sel_hi:[1,0]
	v_pk_add_f32 v[10:11], v[70:71], v[42:43] neg_lo:[0,1] neg_hi:[0,1]
	v_mov_b32_e32 v5, v17
	v_pk_add_f32 v[36:37], v[36:37], v[10:11]
	v_pk_add_f32 v[10:11], v[14:15], v[6:7] op_sel:[0,1] op_sel_hi:[1,0] neg_lo:[0,1] neg_hi:[0,1]
	v_pk_add_f32 v[6:7], v[14:15], v[6:7] op_sel:[0,1] op_sel_hi:[1,0]
	v_pk_add_f32 v[14:15], v[10:11], v[38:39] op_sel:[0,1] op_sel_hi:[1,0] neg_lo:[0,1] neg_hi:[0,1]
	v_pk_add_f32 v[38:39], v[6:7], v[38:39] op_sel:[0,1] op_sel_hi:[1,0]
	v_mov_b32_e32 v7, v15
	v_mov_b32_e32 v6, v38
	v_pk_fma_f32 v[6:7], v[36:37], s[12:13], v[6:7] op_sel_hi:[1,0,1]
	v_mov_b32_e32 v17, v9
	v_mov_b32_e32 v4, v8
	v_pk_mul_f32 v[10:11], v[6:7], s[10:11] op_sel_hi:[1,0]
	v_pk_fma_f32 v[8:9], v[12:13], s[12:13], v[16:17] op_sel_hi:[1,0,1]
	v_pk_fma_f32 v[46:47], v[12:13], s[12:13], v[4:5] op_sel_hi:[1,0,1]
	v_pk_fma_f32 v[42:43], v[6:7], s[14:15], v[10:11] op_sel:[0,0,1] op_sel_hi:[1,0,0] neg_lo:[0,0,1] neg_hi:[0,0,1]
	v_pk_fma_f32 v[48:49], v[6:7], s[14:15], v[10:11] op_sel:[0,0,1] op_sel_hi:[1,0,0]
	v_pk_mul_f32 v[10:11], v[8:9], s[4:5] op_sel_hi:[1,0]
	v_mov_b32_e32 v15, v39
	v_pk_fma_f32 v[12:13], v[8:9], s[12:13], v[10:11] op_sel:[0,0,1] op_sel_hi:[1,0,0] neg_lo:[0,0,1] neg_hi:[0,0,1]
	v_pk_fma_f32 v[8:9], v[8:9], s[12:13], v[10:11] op_sel:[0,0,1] op_sel_hi:[1,0,0]
	v_pk_mul_f32 v[10:11], v[46:47], s[12:13] op_sel_hi:[1,0]
	v_mov_b32_e32 v51, v12
	v_pk_fma_f32 v[12:13], v[46:47], s[4:5], v[10:11] op_sel:[0,0,1] op_sel_hi:[1,1,0] neg_lo:[0,0,1] neg_hi:[0,0,1]
	v_mov_b32_e32 v41, v21
	v_pk_fma_f32 v[14:15], v[36:37], s[12:13], v[14:15] op_sel_hi:[1,0,1]
	v_mov_b32_e32 v63, v57
	v_pk_add_f32 v[10:11], v[60:61], v[12:13]
	v_pk_add_f32 v[16:17], v[60:61], v[12:13] neg_lo:[0,1] neg_hi:[0,1]
	v_pk_fma_f32 v[12:13], v[18:19], s[12:13], v[40:41] op_sel_hi:[1,0,1]
	s_mov_b32 s4, 0xbf167918
	s_mov_b32 s5, s10
	v_pk_mul_f32 v[18:19], v[14:15], s[14:15] op_sel_hi:[1,0]
	v_mov_b32_e32 v21, 3
	v_mov_b32_e32 v49, v43
	v_pk_fma_f32 v[42:43], v[22:23], s[12:13], v[62:63] op_sel_hi:[1,0,1]
	v_mov_b32_e32 v50, v9
	v_pk_fma_f32 v[14:15], v[14:15], s[4:5], v[18:19] op_sel:[0,0,1] op_sel_hi:[1,1,0] neg_lo:[0,0,1] neg_hi:[0,0,1]
	v_mul_u32_u24_e32 v20, 0x410, v67
	v_lshlrev_b32_sdwa v21, v21, v72 dst_sel:DWORD dst_unused:UNUSED_PAD src0_sel:DWORD src1_sel:BYTE_0
	v_pk_add_f32 v[4:5], v[58:59], v[34:35]
	v_pk_add_f32 v[6:7], v[44:45], v[48:49]
	;; [unrolled: 1-line block ×3, first 2 shown]
	v_pk_add_f32 v[18:19], v[12:13], v[14:15] op_sel:[0,1] op_sel_hi:[1,0] neg_lo:[0,1] neg_hi:[0,1]
	v_add3_u32 v36, 0, v20, v21
	v_pk_add_f32 v[20:21], v[12:13], v[14:15] op_sel:[0,1] op_sel_hi:[1,0]
	v_pk_add_f32 v[22:23], v[58:59], v[34:35] neg_lo:[0,1] neg_hi:[0,1]
	v_pk_add_f32 v[12:13], v[44:45], v[48:49] neg_lo:[0,1] neg_hi:[0,1]
	;; [unrolled: 1-line block ×3, first 2 shown]
	ds_write2_b64 v36, v[4:5], v[6:7] offset1:13
	ds_write2_b64 v36, v[8:9], v[10:11] offset0:26 offset1:39
	ds_write2_b64 v36, v[20:21], v[22:23] offset0:52 offset1:65
	ds_write2_b64 v36, v[12:13], v[14:15] offset0:78 offset1:91
	ds_write2_b64 v36, v[16:17], v[18:19] offset0:104 offset1:117
	s_waitcnt lgkmcnt(0)
	s_barrier
	s_and_saveexec_b64 s[4:5], vcc
	s_cbranch_execnz .LBB0_16
; %bb.14:
	s_or_b64 exec, exec, s[4:5]
	s_and_saveexec_b64 s[4:5], s[2:3]
	s_cbranch_execnz .LBB0_17
.LBB0_15:
	s_endpgm
.LBB0_16:
	v_add_u32_e32 v0, 0x1000, v29
	ds_read2_b64 v[4:7], v29 offset1:130
	ds_read2_b64 v[8:11], v33 offset0:4 offset1:134
	ds_read2_b64 v[20:23], v0 offset0:8 offset1:138
	v_add_u32_e32 v0, 0x1800, v29
	ds_read2_b64 v[12:15], v0 offset0:12 offset1:142
	v_add_u32_e32 v0, 0x2000, v29
	ds_read2_b64 v[16:19], v0 offset0:16 offset1:146
	ds_read2_b64 v[0:3], v32 offset0:20 offset1:150
	ds_read_b64 v[30:31], v29 offset:12480
	s_or_b64 exec, exec, s[4:5]
	s_and_saveexec_b64 s[4:5], s[2:3]
	s_cbranch_execz .LBB0_15
.LBB0_17:
	v_mul_u32_u24_e32 v29, 12, v28
	v_lshlrev_b32_e32 v29, 3, v29
	global_load_dwordx4 v[32:35], v29, s[8:9] offset:936
	global_load_dwordx4 v[36:39], v29, s[8:9] offset:952
	;; [unrolled: 1-line block ×6, first 2 shown]
	v_mul_lo_u32 v57, s1, v26
	v_mul_lo_u32 v59, s0, v27
	v_mad_u64_u32 v[26:27], s[0:1], s0, v26, 0
	v_add3_u32 v27, v27, v59, v57
	v_lshl_add_u64 v[26:27], v[26:27], 3, s[6:7]
	s_waitcnt lgkmcnt(6)
	v_mov_b32_e32 v56, v7
	v_mov_b32_e32 v29, 0
	v_lshl_add_u64 v[24:25], v[24:25], 3, v[26:27]
	s_waitcnt lgkmcnt(5)
	v_mov_b32_e32 v58, v9
	s_waitcnt lgkmcnt(4)
	v_mov_b32_e32 v62, v21
	v_mov_b32_e32 v64, v23
	v_lshl_add_u64 v[24:25], v[28:29], 3, v[24:25]
	v_mov_b32_e32 v60, v11
	s_waitcnt lgkmcnt(3)
	v_mov_b32_e32 v66, v15
	s_mov_b32 s13, 0xbeedf032
	s_mov_b32 s12, 0x3f62ad3f
	;; [unrolled: 1-line block ×37, first 2 shown]
	s_movk_i32 s33, 0x1000
	s_mov_b32 s35, 0x3f7e222b
	s_mov_b32 s34, s22
	;; [unrolled: 1-line block ×4, first 2 shown]
	s_waitcnt vmcnt(5)
	v_pk_mul_f32 v[26:27], v[56:57], v[32:33] op_sel:[0,1] op_sel_hi:[1,0]
	v_pk_mul_f32 v[28:29], v[6:7], v[32:33] op_sel:[0,1] op_sel_hi:[1,0]
	v_mov_b32_e32 v56, v35
	v_mov_b32_e32 v57, v34
	s_waitcnt vmcnt(4)
	v_pk_mul_f32 v[68:69], v[10:11], v[36:37] op_sel:[0,1] op_sel_hi:[1,0]
	s_waitcnt vmcnt(3) lgkmcnt(0)
	v_pk_mul_f32 v[70:71], v[30:31], v[42:43] op_sel:[1,0]
	v_pk_mul_f32 v[72:73], v[2:3], v[40:41] op_sel:[1,0]
	s_waitcnt vmcnt(2)
	v_pk_mul_f32 v[74:75], v[0:1], v[46:47] op_sel:[1,0]
	v_pk_mul_f32 v[76:77], v[18:19], v[44:45] op_sel:[1,0]
	v_pk_mul_f32 v[62:63], v[62:63], v[38:39] op_sel_hi:[0,1]
	s_waitcnt vmcnt(0)
	v_pk_mul_f32 v[64:65], v[64:65], v[52:53] op_sel_hi:[0,1]
	v_mov_b32_e32 v28, v29
	v_pk_mul_f32 v[58:59], v[58:59], v[56:57]
	v_pk_mul_f32 v[80:81], v[8:9], v[56:57]
	v_mov_b32_e32 v68, v69
	v_pk_fma_f32 v[82:83], v[30:31], v[42:43], v[70:71] op_sel:[0,0,1] op_sel_hi:[0,1,0] neg_lo:[0,0,1] neg_hi:[0,0,1]
	v_pk_fma_f32 v[30:31], v[30:31], v[42:43], v[70:71] op_sel:[0,0,1] op_sel_hi:[0,1,0]
	v_pk_fma_f32 v[42:43], v[2:3], v[40:41], v[72:73] op_sel:[0,0,1] op_sel_hi:[0,1,0] neg_lo:[0,0,1] neg_hi:[0,0,1]
	v_pk_fma_f32 v[40:41], v[2:3], v[40:41], v[72:73] op_sel:[0,0,1] op_sel_hi:[0,1,0]
	v_pk_fma_f32 v[70:71], v[0:1], v[46:47], v[74:75] op_sel:[0,0,1] op_sel_hi:[0,1,0] neg_lo:[0,0,1] neg_hi:[0,0,1]
	v_pk_fma_f32 v[72:73], v[0:1], v[46:47], v[74:75] op_sel:[0,0,1] op_sel_hi:[0,1,0]
	v_pk_fma_f32 v[0:1], v[18:19], v[44:45], v[76:77] op_sel:[0,0,1] op_sel_hi:[0,1,0]
	v_pk_mul_f32 v[78:79], v[16:17], v[50:51] op_sel:[1,0]
	v_pk_fma_f32 v[26:27], v[6:7], v[32:33], v[26:27] neg_lo:[0,0,1] neg_hi:[0,0,1]
	v_pk_fma_f32 v[74:75], v[18:19], v[44:45], v[76:77] op_sel:[0,0,1] op_sel_hi:[1,1,0] neg_lo:[0,0,1] neg_hi:[0,0,1]
	v_pk_fma_f32 v[18:19], v[20:21], v[38:39], v[62:63] op_sel:[0,0,1] op_sel_hi:[1,1,0] neg_lo:[0,0,1] neg_hi:[0,0,1]
	v_pk_fma_f32 v[2:3], v[20:21], v[38:39], v[62:63] op_sel:[0,0,1] op_sel_hi:[0,1,0]
	v_pk_fma_f32 v[38:39], v[22:23], v[52:53], v[64:65] op_sel:[0,0,1] op_sel_hi:[1,1,0] neg_lo:[0,0,1] neg_hi:[0,0,1]
	v_pk_fma_f32 v[22:23], v[22:23], v[52:53], v[64:65] op_sel:[0,0,1] op_sel_hi:[0,1,0]
	v_pk_fma_f32 v[28:29], v[6:7], v[32:33], v[28:29] op_sel:[0,1,0] op_sel_hi:[1,0,1]
	v_pk_fma_f32 v[32:33], v[8:9], v[34:35], v[58:59] neg_lo:[0,0,1] neg_hi:[0,0,1]
	v_mov_b32_e32 v0, v81
	v_pk_fma_f32 v[34:35], v[10:11], v[36:37], v[68:69] op_sel:[0,1,0] op_sel_hi:[1,0,1]
	v_pk_fma_f32 v[20:21], v[16:17], v[50:51], v[78:79] op_sel:[0,0,1] op_sel_hi:[1,1,0] neg_lo:[0,0,1] neg_hi:[0,0,1]
	v_pk_fma_f32 v[16:17], v[16:17], v[50:51], v[78:79] op_sel:[0,0,1] op_sel_hi:[0,1,0]
	v_mov_b32_e32 v39, v23
	v_pk_fma_f32 v[22:23], v[8:9], v[56:57], v[0:1]
	v_mov_b32_e32 v7, v28
	v_mov_b32_e32 v9, v34
	v_pk_mul_f32 v[60:61], v[60:61], v[36:37] op_sel:[0,1] op_sel_hi:[1,0]
	v_pk_mul_f32 v[66:67], v[66:67], v[48:49] op_sel_hi:[0,1]
	v_mov_b32_e32 v21, v17
	v_pk_add_f32 v[84:85], v[4:5], v[6:7]
	v_pk_add_f32 v[16:17], v[6:7], v[30:31]
	;; [unrolled: 1-line block ×3, first 2 shown]
	v_pk_fma_f32 v[60:61], v[10:11], v[36:37], v[60:61] neg_lo:[0,0,1] neg_hi:[0,0,1]
	v_pk_fma_f32 v[52:53], v[14:15], v[48:49], v[66:67] op_sel:[0,0,1] op_sel_hi:[1,1,0] neg_lo:[0,0,1] neg_hi:[0,0,1]
	v_pk_add_f32 v[36:37], v[4:5], v[26:27]
	v_pk_fma_f32 v[8:9], v[14:15], v[48:49], v[66:67] op_sel:[0,0,1] op_sel_hi:[0,1,0]
	v_mov_b32_e32 v6, v13
	v_pk_add_f32 v[56:57], v[32:33], v[42:43] neg_lo:[0,1] neg_hi:[0,1]
	v_mov_b32_e32 v53, v9
	v_pk_mul_f32 v[8:9], v[6:7], v[54:55] op_sel_hi:[0,1]
	v_pk_add_f32 v[44:45], v[32:33], v[42:43]
	v_mov_b32_e32 v37, v85
	v_mov_b32_e32 v33, v22
	;; [unrolled: 1-line block ×3, first 2 shown]
	v_pk_add_f32 v[76:77], v[60:61], v[70:71] neg_lo:[0,1] neg_hi:[0,1]
	v_pk_fma_f32 v[14:15], v[12:13], v[54:55], v[8:9] op_sel:[0,0,1] op_sel_hi:[1,1,0] neg_lo:[0,0,1] neg_hi:[0,0,1]
	v_pk_fma_f32 v[8:9], v[12:13], v[54:55], v[8:9] op_sel:[0,0,1] op_sel_hi:[0,1,0]
	v_pk_add_f32 v[42:43], v[60:61], v[70:71]
	v_pk_add_f32 v[12:13], v[36:37], v[32:33]
	v_mov_b32_e32 v61, v34
	v_mov_b32_e32 v19, v3
	v_pk_add_f32 v[12:13], v[12:13], v[60:61]
	v_mov_b32_e32 v15, v9
	v_pk_add_f32 v[12:13], v[12:13], v[18:19]
	;; [unrolled: 2-line block ×8, first 2 shown]
	v_pk_add_f32 v[62:63], v[26:27], v[82:83] neg_lo:[0,1] neg_hi:[0,1]
	v_pk_add_f32 v[48:49], v[26:27], v[82:83]
	v_mov_b32_e32 v6, v31
	v_pk_add_f32 v[12:13], v[64:65], v[12:13]
	v_pk_add_f32 v[50:51], v[28:29], v[6:7] neg_lo:[0,1] neg_hi:[0,1]
	v_pk_add_f32 v[12:13], v[58:59], v[12:13]
	v_mov_b32_e32 v49, v62
	global_store_dwordx2 v[24:25], v[12:13], off
	v_pk_mul_f32 v[12:13], v[48:49], s[12:13]
	v_mov_b32_e32 v16, v50
	v_pk_add_f32 v[78:79], v[18:19], v[74:75] neg_lo:[0,1] neg_hi:[0,1]
	v_pk_add_f32 v[2:3], v[18:19], v[74:75]
	v_mov_b32_e32 v11, v22
	v_pk_add_f32 v[54:55], v[14:15], v[52:53] neg_lo:[0,1] neg_hi:[0,1]
	v_pk_add_f32 v[8:9], v[14:15], v[52:53]
	v_mov_b32_e32 v6, v41
	v_pk_fma_f32 v[18:19], v[50:51], s[0:1], v[12:13] neg_lo:[1,0,0] neg_hi:[1,0,0]
	v_pk_fma_f32 v[14:15], v[16:17], s[0:1], v[12:13]
	v_pk_add_f32 v[10:11], v[10:11], v[40:41]
	v_pk_add_f32 v[46:47], v[22:23], v[6:7] neg_lo:[0,1] neg_hi:[0,1]
	v_mov_b32_e32 v19, v15
	v_mov_b32_e32 v45, v56
	v_pk_add_f32 v[22:23], v[4:5], v[18:19]
	v_pk_mul_f32 v[18:19], v[44:45], s[14:15]
	v_mov_b32_e32 v10, v46
	v_pk_add_f32 v[80:81], v[38:39], v[20:21] neg_lo:[0,1] neg_hi:[0,1]
	v_pk_add_f32 v[0:1], v[38:39], v[20:21]
	v_mov_b32_e32 v6, v73
	v_pk_fma_f32 v[26:27], v[46:47], s[2:3], v[18:19] neg_lo:[1,0,0] neg_hi:[1,0,0]
	v_pk_fma_f32 v[20:21], v[10:11], s[2:3], v[18:19]
	v_pk_add_f32 v[40:41], v[34:35], v[6:7] neg_lo:[0,1] neg_hi:[0,1]
	v_mov_b32_e32 v27, v21
	v_mov_b32_e32 v43, v76
	v_pk_add_f32 v[28:29], v[22:23], v[26:27]
	v_pk_mul_f32 v[22:23], v[42:43], s[22:23]
	v_mov_b32_e32 v6, v40
	v_pk_fma_f32 v[30:31], v[40:41], s[4:5], v[22:23] neg_lo:[1,0,0] neg_hi:[1,0,0]
	v_pk_fma_f32 v[26:27], v[6:7], s[4:5], v[22:23]
	v_mov_b32_e32 v60, v2
	v_mov_b32_e32 v31, v27
	v_mov_b32_e32 v61, v78
	v_pk_add_f32 v[32:33], v[28:29], v[30:31]
	v_pk_mul_f32 v[28:29], v[60:61], s[24:25]
	v_mov_b32_e32 v2, v79
	v_pk_fma_f32 v[34:35], v[2:3], s[6:7], v[28:29] neg_lo:[1,0,0] neg_hi:[1,0,0]
	v_pk_fma_f32 v[30:31], v[2:3], s[6:7], v[28:29]
	v_mov_b32_e32 v62, v0
	;; [unrolled: 8-line block ×3, first 2 shown]
	v_mov_b32_e32 v39, v35
	v_mov_b32_e32 v65, v54
	v_pk_add_f32 v[52:53], v[36:37], v[38:39]
	v_pk_mul_f32 v[36:37], v[64:65], s[28:29]
	v_mov_b32_e32 v8, v55
	v_pk_fma_f32 v[54:55], v[8:9], s[10:11], v[36:37] neg_lo:[1,0,0] neg_hi:[1,0,0]
	v_pk_fma_f32 v[38:39], v[8:9], s[10:11], v[36:37]
	v_pk_mul_f32 v[58:59], v[44:45], s[24:25]
	v_mov_b32_e32 v55, v39
	v_pk_add_f32 v[52:53], v[52:53], v[54:55]
	v_pk_mul_f32 v[54:55], v[48:49], s[14:15]
	global_store_dwordx2 v[24:25], v[52:53], off offset:1040
	v_pk_fma_f32 v[56:57], v[50:51], s[2:3], v[54:55] neg_lo:[1,0,0] neg_hi:[1,0,0]
	v_pk_fma_f32 v[52:53], v[16:17], s[2:3], v[54:55]
	v_pk_fma_f32 v[68:69], v[46:47], s[6:7], v[58:59] neg_lo:[1,0,0] neg_hi:[1,0,0]
	v_mov_b32_e32 v57, v53
	v_pk_add_f32 v[66:67], v[4:5], v[56:57]
	v_pk_fma_f32 v[56:57], v[10:11], s[6:7], v[58:59]
	v_pk_mul_f32 v[74:75], v[44:45], s[30:31]
	v_mov_b32_e32 v69, v57
	v_pk_add_f32 v[66:67], v[66:67], v[68:69]
	v_pk_mul_f32 v[68:69], v[48:49], s[24:25]
	v_pk_fma_f32 v[76:77], v[46:47], s[16:17], v[74:75] neg_lo:[1,0,0] neg_hi:[1,0,0]
	v_pk_fma_f32 v[70:71], v[50:51], s[6:7], v[68:69] neg_lo:[1,0,0] neg_hi:[1,0,0]
	v_pk_fma_f32 v[72:73], v[16:17], s[6:7], v[68:69]
	v_pk_fma_f32 v[78:79], v[10:11], s[16:17], v[74:75]
	v_mov_b32_e32 v71, v73
	s_mov_b32 s13, 0x3eedf032
	v_pk_add_f32 v[70:71], v[4:5], v[70:71]
	v_mov_b32_e32 v77, v79
	s_mov_b32 s20, s13
	v_pk_add_f32 v[70:71], v[70:71], v[76:77]
	v_pk_mul_f32 v[76:77], v[42:43], s[12:13]
	v_pk_mul_f32 v[100:101], v[44:45], s[34:35]
	v_pk_fma_f32 v[80:81], v[40:41], s[20:21], v[76:77] neg_lo:[1,0,0] neg_hi:[1,0,0]
	v_pk_fma_f32 v[82:83], v[6:7], s[20:21], v[76:77]
	v_pk_fma_f32 v[102:103], v[46:47], s[18:19], v[100:101] neg_lo:[1,0,0] neg_hi:[1,0,0]
	v_mov_b32_e32 v81, v83
	v_pk_add_f32 v[70:71], v[70:71], v[80:81]
	v_pk_mul_f32 v[80:81], v[60:61], s[22:23]
	v_pk_fma_f32 v[104:105], v[10:11], s[18:19], v[100:101]
	v_pk_fma_f32 v[84:85], v[2:3], s[4:5], v[80:81] neg_lo:[1,0,0] neg_hi:[1,0,0]
	v_pk_fma_f32 v[86:87], v[2:3], s[4:5], v[80:81]
	v_mov_b32_e32 v103, v105
	v_mov_b32_e32 v85, v87
	v_pk_add_f32 v[70:71], v[70:71], v[84:85]
	v_pk_mul_f32 v[84:85], v[62:63], s[40:41]
	v_pk_mul_f32 v[124:125], v[44:45], s[12:13]
	v_pk_fma_f32 v[88:89], v[0:1], s[36:37], v[84:85] neg_lo:[1,0,0] neg_hi:[1,0,0]
	v_pk_fma_f32 v[90:91], v[0:1], s[36:37], v[84:85]
	v_pk_fma_f32 v[126:127], v[46:47], s[20:21], v[124:125] neg_lo:[1,0,0] neg_hi:[1,0,0]
	v_mov_b32_e32 v89, v91
	v_pk_add_f32 v[70:71], v[70:71], v[88:89]
	v_pk_mul_f32 v[88:89], v[64:65], s[42:43]
	v_pk_fma_f32 v[128:129], v[10:11], s[20:21], v[124:125]
	v_pk_fma_f32 v[92:93], v[8:9], s[38:39], v[88:89] neg_lo:[1,0,0] neg_hi:[1,0,0]
	v_pk_fma_f32 v[94:95], v[8:9], s[38:39], v[88:89]
	v_mov_b32_e32 v127, v129
	v_mov_b32_e32 v93, v95
	v_pk_add_f32 v[70:71], v[70:71], v[92:93]
	v_add_co_u32_e32 v92, vcc, s33, v24
	v_pk_mul_f32 v[44:45], v[44:45], s[28:29]
	s_nop 0
	v_addc_co_u32_e32 v93, vcc, 0, v25, vcc
	global_store_dwordx2 v[92:93], v[70:71], off offset:64
	v_pk_mul_f32 v[70:71], v[48:49], s[26:27]
	v_pk_fma_f32 v[46:47], v[46:47], s[10:11], v[44:45] neg_lo:[1,0,0] neg_hi:[1,0,0]
	v_pk_fma_f32 v[96:97], v[50:51], s[8:9], v[70:71] neg_lo:[1,0,0] neg_hi:[1,0,0]
	v_pk_fma_f32 v[98:99], v[16:17], s[8:9], v[70:71]
	v_pk_fma_f32 v[12:13], v[16:17], s[0:1], v[12:13] neg_lo:[0,0,1] neg_hi:[0,0,1]
	v_mov_b32_e32 v97, v99
	v_pk_add_f32 v[96:97], v[4:5], v[96:97]
	v_mov_b32_e32 v15, v13
	v_pk_add_f32 v[96:97], v[96:97], v[102:103]
	v_pk_mul_f32 v[102:103], v[42:43], s[14:15]
	s_nop 0
	v_pk_fma_f32 v[106:107], v[40:41], s[2:3], v[102:103] neg_lo:[1,0,0] neg_hi:[1,0,0]
	v_pk_fma_f32 v[108:109], v[6:7], s[2:3], v[102:103]
	s_nop 0
	v_mov_b32_e32 v107, v109
	v_pk_add_f32 v[96:97], v[96:97], v[106:107]
	v_pk_mul_f32 v[106:107], v[60:61], s[40:41]
	s_nop 0
	v_pk_fma_f32 v[110:111], v[2:3], s[36:37], v[106:107] neg_lo:[1,0,0] neg_hi:[1,0,0]
	v_pk_fma_f32 v[112:113], v[2:3], s[36:37], v[106:107]
	s_nop 0
	;; [unrolled: 7-line block ×4, first 2 shown]
	v_mov_b32_e32 v119, v121
	v_pk_add_f32 v[96:97], v[96:97], v[118:119]
	global_store_dwordx2 v[92:93], v[96:97], off offset:1104
	v_pk_mul_f32 v[96:97], v[48:49], s[28:29]
	v_pk_mul_f32 v[48:49], v[48:49], s[22:23]
	v_pk_fma_f32 v[118:119], v[50:51], s[10:11], v[96:97] neg_lo:[1,0,0] neg_hi:[1,0,0]
	v_pk_fma_f32 v[122:123], v[16:17], s[10:11], v[96:97]
	v_pk_fma_f32 v[96:97], v[16:17], s[10:11], v[96:97] neg_lo:[0,0,1] neg_hi:[0,0,1]
	v_mov_b32_e32 v119, v123
	v_pk_add_f32 v[118:119], v[4:5], v[118:119]
	v_mov_b32_e32 v123, v97
	v_pk_add_f32 v[118:119], v[118:119], v[126:127]
	v_pk_mul_f32 v[126:127], v[42:43], s[26:27]
	v_pk_fma_f32 v[96:97], v[10:11], s[20:21], v[124:125] neg_lo:[0,0,1] neg_hi:[0,0,1]
	v_pk_fma_f32 v[130:131], v[40:41], s[8:9], v[126:127] neg_lo:[1,0,0] neg_hi:[1,0,0]
	v_pk_fma_f32 v[132:133], v[6:7], s[8:9], v[126:127]
	v_mov_b32_e32 v129, v97
	v_mov_b32_e32 v131, v133
	v_pk_add_f32 v[118:119], v[118:119], v[130:131]
	v_pk_mul_f32 v[130:131], v[60:61], s[42:43]
	v_pk_add_f32 v[96:97], v[4:5], v[122:123]
	v_pk_fma_f32 v[134:135], v[2:3], s[38:39], v[130:131] neg_lo:[1,0,0] neg_hi:[1,0,0]
	v_pk_fma_f32 v[136:137], v[2:3], s[38:39], v[130:131]
	v_pk_add_f32 v[96:97], v[96:97], v[128:129]
	v_mov_b32_e32 v135, v137
	v_pk_add_f32 v[118:119], v[118:119], v[134:135]
	v_pk_mul_f32 v[134:135], v[62:63], s[24:25]
	v_pk_fma_f32 v[50:51], v[50:51], s[4:5], v[48:49] neg_lo:[1,0,0] neg_hi:[1,0,0]
	v_pk_fma_f32 v[138:139], v[0:1], s[6:7], v[134:135] neg_lo:[1,0,0] neg_hi:[1,0,0]
	v_pk_fma_f32 v[140:141], v[0:1], s[6:7], v[134:135]
	s_mov_b32 s23, 0x3f6f5d39
	v_mov_b32_e32 v139, v141
	v_pk_add_f32 v[118:119], v[118:119], v[138:139]
	v_pk_mul_f32 v[138:139], v[64:65], s[34:35]
	s_mov_b32 s22, s24
	v_pk_fma_f32 v[142:143], v[8:9], s[18:19], v[138:139] neg_lo:[1,0,0] neg_hi:[1,0,0]
	v_pk_fma_f32 v[144:145], v[8:9], s[18:19], v[138:139]
	s_nop 0
	v_mov_b32_e32 v143, v145
	v_pk_add_f32 v[118:119], v[118:119], v[142:143]
	global_store_dwordx2 v[92:93], v[118:119], off offset:2144
	v_pk_fma_f32 v[118:119], v[6:7], s[8:9], v[126:127] neg_lo:[0,0,1] neg_hi:[0,0,1]
	s_nop 0
	v_mov_b32_e32 v133, v119
	v_pk_fma_f32 v[118:119], v[2:3], s[38:39], v[130:131] neg_lo:[0,0,1] neg_hi:[0,0,1]
	v_pk_add_f32 v[96:97], v[96:97], v[132:133]
	v_mov_b32_e32 v137, v119
	v_pk_fma_f32 v[118:119], v[0:1], s[6:7], v[134:135] neg_lo:[0,0,1] neg_hi:[0,0,1]
	v_pk_add_f32 v[96:97], v[96:97], v[136:137]
	;; [unrolled: 3-line block ×3, first 2 shown]
	v_mov_b32_e32 v145, v119
	v_pk_add_f32 v[96:97], v[96:97], v[144:145]
	v_pk_mul_f32 v[118:119], v[42:43], s[28:29]
	global_store_dwordx2 v[92:93], v[96:97], off offset:3184
	v_pk_fma_f32 v[92:93], v[40:41], s[10:11], v[118:119] neg_lo:[1,0,0] neg_hi:[1,0,0]
	v_pk_fma_f32 v[96:97], v[6:7], s[10:11], v[118:119]
	v_pk_mul_f32 v[42:43], v[42:43], s[22:23]
	v_mov_b32_e32 v93, v97
	v_pk_add_f32 v[66:67], v[66:67], v[92:93]
	v_pk_mul_f32 v[92:93], v[60:61], s[30:31]
	s_mov_b32 s22, s23
	v_pk_fma_f32 v[122:123], v[2:3], s[16:17], v[92:93] neg_lo:[1,0,0] neg_hi:[1,0,0]
	v_pk_fma_f32 v[124:125], v[2:3], s[16:17], v[92:93]
	s_mov_b32 s23, s24
	v_mov_b32_e32 v123, v125
	v_pk_add_f32 v[66:67], v[66:67], v[122:123]
	v_pk_mul_f32 v[122:123], v[62:63], s[34:35]
	v_pk_fma_f32 v[40:41], v[40:41], s[22:23], v[42:43] neg_lo:[1,0,0] neg_hi:[1,0,0]
	v_pk_fma_f32 v[126:127], v[0:1], s[18:19], v[122:123] neg_lo:[1,0,0] neg_hi:[1,0,0]
	v_pk_fma_f32 v[128:129], v[0:1], s[18:19], v[122:123]
	s_nop 0
	v_mov_b32_e32 v127, v129
	v_pk_add_f32 v[66:67], v[66:67], v[126:127]
	v_pk_mul_f32 v[126:127], v[64:65], s[12:13]
	s_nop 0
	v_pk_fma_f32 v[130:131], v[8:9], s[20:21], v[126:127] neg_lo:[1,0,0] neg_hi:[1,0,0]
	v_pk_fma_f32 v[132:133], v[8:9], s[20:21], v[126:127]
	s_nop 0
	v_mov_b32_e32 v131, v133
	v_pk_add_f32 v[66:67], v[66:67], v[130:131]
	global_store_dwordx2 v[24:25], v[66:67], off offset:2080
	v_pk_fma_f32 v[66:67], v[16:17], s[4:5], v[48:49]
	v_pk_fma_f32 v[130:131], v[10:11], s[10:11], v[44:45]
	v_mov_b32_e32 v51, v67
	v_pk_add_f32 v[50:51], v[4:5], v[50:51]
	v_mov_b32_e32 v47, v131
	v_pk_add_f32 v[46:47], v[50:51], v[46:47]
	v_pk_fma_f32 v[50:51], v[6:7], s[22:23], v[42:43]
	v_pk_fma_f32 v[44:45], v[10:11], s[10:11], v[44:45] neg_lo:[0,0,1] neg_hi:[0,0,1]
	v_mov_b32_e32 v41, v51
	v_pk_add_f32 v[40:41], v[46:47], v[40:41]
	v_pk_mul_f32 v[46:47], v[60:61], s[12:13]
	s_movk_i32 s12, 0x2000
	v_pk_fma_f32 v[60:61], v[2:3], s[20:21], v[46:47] neg_lo:[1,0,0] neg_hi:[1,0,0]
	v_pk_fma_f32 v[134:135], v[2:3], s[20:21], v[46:47]
	v_mov_b32_e32 v131, v45
	v_mov_b32_e32 v61, v135
	v_pk_add_f32 v[40:41], v[40:41], v[60:61]
	v_pk_mul_f32 v[60:61], v[62:63], s[14:15]
	v_pk_fma_f32 v[42:43], v[6:7], s[22:23], v[42:43] neg_lo:[0,0,1] neg_hi:[0,0,1]
	v_pk_fma_f32 v[62:63], v[0:1], s[2:3], v[60:61] neg_lo:[1,0,0] neg_hi:[1,0,0]
	v_pk_fma_f32 v[136:137], v[0:1], s[2:3], v[60:61]
	v_mov_b32_e32 v51, v43
	v_mov_b32_e32 v63, v137
	v_pk_add_f32 v[40:41], v[40:41], v[62:63]
	v_pk_mul_f32 v[62:63], v[64:65], s[26:27]
	v_pk_fma_f32 v[42:43], v[2:3], s[20:21], v[46:47] neg_lo:[0,0,1] neg_hi:[0,0,1]
	v_pk_fma_f32 v[64:65], v[8:9], s[8:9], v[62:63] neg_lo:[1,0,0] neg_hi:[1,0,0]
	v_pk_fma_f32 v[138:139], v[8:9], s[8:9], v[62:63]
	v_mov_b32_e32 v135, v43
	v_mov_b32_e32 v65, v139
	v_pk_add_f32 v[40:41], v[40:41], v[64:65]
	global_store_dwordx2 v[24:25], v[40:41], off offset:3120
	v_pk_fma_f32 v[40:41], v[16:17], s[8:9], v[70:71] neg_lo:[0,0,1] neg_hi:[0,0,1]
	v_pk_fma_f32 v[64:65], v[6:7], s[2:3], v[102:103] neg_lo:[0,0,1] neg_hi:[0,0,1]
	v_mov_b32_e32 v99, v41
	v_pk_fma_f32 v[40:41], v[10:11], s[18:19], v[100:101] neg_lo:[0,0,1] neg_hi:[0,0,1]
	v_mov_b32_e32 v109, v65
	v_mov_b32_e32 v105, v41
	v_pk_add_f32 v[40:41], v[4:5], v[98:99]
	v_pk_fma_f32 v[64:65], v[2:3], s[36:37], v[106:107] neg_lo:[0,0,1] neg_hi:[0,0,1]
	v_pk_add_f32 v[40:41], v[40:41], v[104:105]
	v_mov_b32_e32 v113, v65
	v_pk_add_f32 v[40:41], v[40:41], v[108:109]
	v_pk_fma_f32 v[64:65], v[0:1], s[20:21], v[110:111] neg_lo:[0,0,1] neg_hi:[0,0,1]
	v_pk_add_f32 v[40:41], v[40:41], v[112:113]
	v_mov_b32_e32 v117, v65
	v_pk_fma_f32 v[64:65], v[8:9], s[6:7], v[114:115] neg_lo:[0,0,1] neg_hi:[0,0,1]
	v_pk_add_f32 v[40:41], v[40:41], v[116:117]
	v_mov_b32_e32 v121, v65
	v_add_co_u32_e32 v64, vcc, s12, v24
	v_pk_add_f32 v[40:41], v[40:41], v[120:121]
	s_nop 0
	v_addc_co_u32_e32 v65, vcc, 0, v25, vcc
	global_store_dwordx2 v[64:65], v[40:41], off offset:128
	v_pk_fma_f32 v[40:41], v[16:17], s[6:7], v[68:69] neg_lo:[0,0,1] neg_hi:[0,0,1]
	v_pk_fma_f32 v[68:69], v[10:11], s[16:17], v[74:75] neg_lo:[0,0,1] neg_hi:[0,0,1]
	v_mov_b32_e32 v73, v41
	v_pk_add_f32 v[40:41], v[4:5], v[72:73]
	v_mov_b32_e32 v79, v69
	v_pk_fma_f32 v[68:69], v[6:7], s[20:21], v[76:77] neg_lo:[0,0,1] neg_hi:[0,0,1]
	v_pk_add_f32 v[40:41], v[40:41], v[78:79]
	v_mov_b32_e32 v83, v69
	v_pk_fma_f32 v[68:69], v[2:3], s[4:5], v[80:81] neg_lo:[0,0,1] neg_hi:[0,0,1]
	;; [unrolled: 3-line block ×4, first 2 shown]
	v_pk_add_f32 v[40:41], v[40:41], v[90:91]
	v_mov_b32_e32 v95, v69
	v_pk_add_f32 v[40:41], v[40:41], v[94:95]
	global_store_dwordx2 v[64:65], v[40:41], off offset:1168
	v_pk_fma_f32 v[40:41], v[16:17], s[4:5], v[48:49] neg_lo:[0,0,1] neg_hi:[0,0,1]
	v_pk_fma_f32 v[42:43], v[0:1], s[2:3], v[60:61] neg_lo:[0,0,1] neg_hi:[0,0,1]
	v_mov_b32_e32 v67, v41
	v_pk_add_f32 v[40:41], v[4:5], v[66:67]
	v_mov_b32_e32 v137, v43
	v_pk_add_f32 v[40:41], v[40:41], v[130:131]
	v_pk_fma_f32 v[42:43], v[8:9], s[8:9], v[62:63] neg_lo:[0,0,1] neg_hi:[0,0,1]
	v_pk_add_f32 v[40:41], v[40:41], v[50:51]
	v_mov_b32_e32 v139, v43
	v_pk_add_f32 v[40:41], v[40:41], v[134:135]
	v_pk_fma_f32 v[42:43], v[10:11], s[6:7], v[58:59] neg_lo:[0,0,1] neg_hi:[0,0,1]
	v_pk_add_f32 v[40:41], v[40:41], v[136:137]
	v_pk_fma_f32 v[10:11], v[10:11], s[2:3], v[18:19] neg_lo:[0,0,1] neg_hi:[0,0,1]
	v_pk_add_f32 v[40:41], v[40:41], v[138:139]
	global_store_dwordx2 v[64:65], v[40:41], off offset:2208
	v_pk_fma_f32 v[40:41], v[16:17], s[2:3], v[54:55] neg_lo:[0,0,1] neg_hi:[0,0,1]
	v_mov_b32_e32 v57, v43
	v_mov_b32_e32 v53, v41
	v_pk_add_f32 v[40:41], v[4:5], v[52:53]
	v_pk_fma_f32 v[42:43], v[6:7], s[10:11], v[118:119] neg_lo:[0,0,1] neg_hi:[0,0,1]
	v_pk_add_f32 v[4:5], v[4:5], v[14:15]
	v_mov_b32_e32 v21, v11
	v_pk_fma_f32 v[6:7], v[6:7], s[4:5], v[22:23] neg_lo:[0,0,1] neg_hi:[0,0,1]
	v_mov_b32_e32 v97, v43
	v_pk_fma_f32 v[42:43], v[2:3], s[16:17], v[92:93] neg_lo:[0,0,1] neg_hi:[0,0,1]
	v_pk_add_f32 v[4:5], v[4:5], v[20:21]
	v_mov_b32_e32 v27, v7
	v_pk_fma_f32 v[2:3], v[2:3], s[6:7], v[28:29] neg_lo:[0,0,1] neg_hi:[0,0,1]
	v_pk_add_f32 v[40:41], v[40:41], v[56:57]
	;; [unrolled: 3-line block ×4, first 2 shown]
	v_pk_add_f32 v[2:3], v[4:5], v[30:31]
	v_mov_b32_e32 v35, v1
	v_pk_add_f32 v[40:41], v[40:41], v[124:125]
	v_mov_b32_e32 v129, v43
	v_pk_fma_f32 v[42:43], v[8:9], s[20:21], v[126:127] neg_lo:[0,0,1] neg_hi:[0,0,1]
	v_pk_add_f32 v[0:1], v[2:3], v[34:35]
	v_pk_fma_f32 v[2:3], v[8:9], s[10:11], v[36:37] neg_lo:[0,0,1] neg_hi:[0,0,1]
	v_pk_add_f32 v[40:41], v[40:41], v[128:129]
	v_mov_b32_e32 v133, v43
	v_mov_b32_e32 v39, v3
	v_add_co_u32_e32 v2, vcc, 0x3000, v24
	v_pk_add_f32 v[40:41], v[40:41], v[132:133]
	v_pk_add_f32 v[0:1], v[0:1], v[38:39]
	v_addc_co_u32_e32 v3, vcc, 0, v25, vcc
	global_store_dwordx2 v[64:65], v[40:41], off offset:3248
	global_store_dwordx2 v[2:3], v[0:1], off offset:192
	s_endpgm
	.section	.rodata,"a",@progbits
	.p2align	6, 0x0
	.amdhsa_kernel fft_rtc_fwd_len1690_factors_13_10_13_wgs_169_tpt_169_sp_op_CI_CI_unitstride_sbrr_dirReg
		.amdhsa_group_segment_fixed_size 0
		.amdhsa_private_segment_fixed_size 0
		.amdhsa_kernarg_size 104
		.amdhsa_user_sgpr_count 2
		.amdhsa_user_sgpr_dispatch_ptr 0
		.amdhsa_user_sgpr_queue_ptr 0
		.amdhsa_user_sgpr_kernarg_segment_ptr 1
		.amdhsa_user_sgpr_dispatch_id 0
		.amdhsa_user_sgpr_kernarg_preload_length 0
		.amdhsa_user_sgpr_kernarg_preload_offset 0
		.amdhsa_user_sgpr_private_segment_size 0
		.amdhsa_uses_dynamic_stack 0
		.amdhsa_enable_private_segment 0
		.amdhsa_system_sgpr_workgroup_id_x 1
		.amdhsa_system_sgpr_workgroup_id_y 0
		.amdhsa_system_sgpr_workgroup_id_z 0
		.amdhsa_system_sgpr_workgroup_info 0
		.amdhsa_system_vgpr_workitem_id 0
		.amdhsa_next_free_vgpr 146
		.amdhsa_next_free_sgpr 48
		.amdhsa_accum_offset 148
		.amdhsa_reserve_vcc 1
		.amdhsa_float_round_mode_32 0
		.amdhsa_float_round_mode_16_64 0
		.amdhsa_float_denorm_mode_32 3
		.amdhsa_float_denorm_mode_16_64 3
		.amdhsa_dx10_clamp 1
		.amdhsa_ieee_mode 1
		.amdhsa_fp16_overflow 0
		.amdhsa_tg_split 0
		.amdhsa_exception_fp_ieee_invalid_op 0
		.amdhsa_exception_fp_denorm_src 0
		.amdhsa_exception_fp_ieee_div_zero 0
		.amdhsa_exception_fp_ieee_overflow 0
		.amdhsa_exception_fp_ieee_underflow 0
		.amdhsa_exception_fp_ieee_inexact 0
		.amdhsa_exception_int_div_zero 0
	.end_amdhsa_kernel
	.text
.Lfunc_end0:
	.size	fft_rtc_fwd_len1690_factors_13_10_13_wgs_169_tpt_169_sp_op_CI_CI_unitstride_sbrr_dirReg, .Lfunc_end0-fft_rtc_fwd_len1690_factors_13_10_13_wgs_169_tpt_169_sp_op_CI_CI_unitstride_sbrr_dirReg
                                        ; -- End function
	.section	.AMDGPU.csdata,"",@progbits
; Kernel info:
; codeLenInByte = 9144
; NumSgprs: 54
; NumVgprs: 146
; NumAgprs: 0
; TotalNumVgprs: 146
; ScratchSize: 0
; MemoryBound: 0
; FloatMode: 240
; IeeeMode: 1
; LDSByteSize: 0 bytes/workgroup (compile time only)
; SGPRBlocks: 6
; VGPRBlocks: 18
; NumSGPRsForWavesPerEU: 54
; NumVGPRsForWavesPerEU: 146
; AccumOffset: 148
; Occupancy: 3
; WaveLimiterHint : 1
; COMPUTE_PGM_RSRC2:SCRATCH_EN: 0
; COMPUTE_PGM_RSRC2:USER_SGPR: 2
; COMPUTE_PGM_RSRC2:TRAP_HANDLER: 0
; COMPUTE_PGM_RSRC2:TGID_X_EN: 1
; COMPUTE_PGM_RSRC2:TGID_Y_EN: 0
; COMPUTE_PGM_RSRC2:TGID_Z_EN: 0
; COMPUTE_PGM_RSRC2:TIDIG_COMP_CNT: 0
; COMPUTE_PGM_RSRC3_GFX90A:ACCUM_OFFSET: 36
; COMPUTE_PGM_RSRC3_GFX90A:TG_SPLIT: 0
	.text
	.p2alignl 6, 3212836864
	.fill 256, 4, 3212836864
	.type	__hip_cuid_ad3614113631d1f,@object ; @__hip_cuid_ad3614113631d1f
	.section	.bss,"aw",@nobits
	.globl	__hip_cuid_ad3614113631d1f
__hip_cuid_ad3614113631d1f:
	.byte	0                               ; 0x0
	.size	__hip_cuid_ad3614113631d1f, 1

	.ident	"AMD clang version 19.0.0git (https://github.com/RadeonOpenCompute/llvm-project roc-6.4.0 25133 c7fe45cf4b819c5991fe208aaa96edf142730f1d)"
	.section	".note.GNU-stack","",@progbits
	.addrsig
	.addrsig_sym __hip_cuid_ad3614113631d1f
	.amdgpu_metadata
---
amdhsa.kernels:
  - .agpr_count:     0
    .args:
      - .actual_access:  read_only
        .address_space:  global
        .offset:         0
        .size:           8
        .value_kind:     global_buffer
      - .offset:         8
        .size:           8
        .value_kind:     by_value
      - .actual_access:  read_only
        .address_space:  global
        .offset:         16
        .size:           8
        .value_kind:     global_buffer
      - .actual_access:  read_only
        .address_space:  global
        .offset:         24
        .size:           8
        .value_kind:     global_buffer
      - .actual_access:  read_only
        .address_space:  global
        .offset:         32
        .size:           8
        .value_kind:     global_buffer
      - .offset:         40
        .size:           8
        .value_kind:     by_value
      - .actual_access:  read_only
        .address_space:  global
        .offset:         48
        .size:           8
        .value_kind:     global_buffer
      - .actual_access:  read_only
        .address_space:  global
        .offset:         56
        .size:           8
        .value_kind:     global_buffer
      - .offset:         64
        .size:           4
        .value_kind:     by_value
      - .actual_access:  read_only
        .address_space:  global
        .offset:         72
        .size:           8
        .value_kind:     global_buffer
      - .actual_access:  read_only
        .address_space:  global
        .offset:         80
        .size:           8
        .value_kind:     global_buffer
      - .actual_access:  read_only
        .address_space:  global
        .offset:         88
        .size:           8
        .value_kind:     global_buffer
      - .actual_access:  write_only
        .address_space:  global
        .offset:         96
        .size:           8
        .value_kind:     global_buffer
    .group_segment_fixed_size: 0
    .kernarg_segment_align: 8
    .kernarg_segment_size: 104
    .language:       OpenCL C
    .language_version:
      - 2
      - 0
    .max_flat_workgroup_size: 169
    .name:           fft_rtc_fwd_len1690_factors_13_10_13_wgs_169_tpt_169_sp_op_CI_CI_unitstride_sbrr_dirReg
    .private_segment_fixed_size: 0
    .sgpr_count:     54
    .sgpr_spill_count: 0
    .symbol:         fft_rtc_fwd_len1690_factors_13_10_13_wgs_169_tpt_169_sp_op_CI_CI_unitstride_sbrr_dirReg.kd
    .uniform_work_group_size: 1
    .uses_dynamic_stack: false
    .vgpr_count:     146
    .vgpr_spill_count: 0
    .wavefront_size: 64
amdhsa.target:   amdgcn-amd-amdhsa--gfx950
amdhsa.version:
  - 1
  - 2
...

	.end_amdgpu_metadata
